;; amdgpu-corpus repo=ROCm/rocFFT kind=compiled arch=gfx1030 opt=O3
	.text
	.amdgcn_target "amdgcn-amd-amdhsa--gfx1030"
	.amdhsa_code_object_version 6
	.protected	fft_rtc_back_len3600_factors_10_10_6_6_wgs_120_tpt_120_halfLds_sp_ip_CI_unitstride_sbrr_dirReg ; -- Begin function fft_rtc_back_len3600_factors_10_10_6_6_wgs_120_tpt_120_halfLds_sp_ip_CI_unitstride_sbrr_dirReg
	.globl	fft_rtc_back_len3600_factors_10_10_6_6_wgs_120_tpt_120_halfLds_sp_ip_CI_unitstride_sbrr_dirReg
	.p2align	8
	.type	fft_rtc_back_len3600_factors_10_10_6_6_wgs_120_tpt_120_halfLds_sp_ip_CI_unitstride_sbrr_dirReg,@function
fft_rtc_back_len3600_factors_10_10_6_6_wgs_120_tpt_120_halfLds_sp_ip_CI_unitstride_sbrr_dirReg: ; @fft_rtc_back_len3600_factors_10_10_6_6_wgs_120_tpt_120_halfLds_sp_ip_CI_unitstride_sbrr_dirReg
; %bb.0:
	s_clause 0x2
	s_load_dwordx4 s[8:11], s[4:5], 0x0
	s_load_dwordx2 s[2:3], s[4:5], 0x50
	s_load_dwordx2 s[12:13], s[4:5], 0x18
	v_mul_u32_u24_e32 v1, 0x223, v0
	v_mov_b32_e32 v3, 0
	v_add_nc_u32_sdwa v5, s6, v1 dst_sel:DWORD dst_unused:UNUSED_PAD src0_sel:DWORD src1_sel:WORD_1
	v_mov_b32_e32 v1, 0
	v_mov_b32_e32 v6, v3
	v_mov_b32_e32 v2, 0
	s_waitcnt lgkmcnt(0)
	v_cmp_lt_u64_e64 s0, s[10:11], 2
	s_and_b32 vcc_lo, exec_lo, s0
	s_cbranch_vccnz .LBB0_8
; %bb.1:
	s_load_dwordx2 s[0:1], s[4:5], 0x10
	v_mov_b32_e32 v1, 0
	s_add_u32 s6, s12, 8
	v_mov_b32_e32 v2, 0
	s_addc_u32 s7, s13, 0
	s_mov_b64 s[16:17], 1
	s_waitcnt lgkmcnt(0)
	s_add_u32 s14, s0, 8
	s_addc_u32 s15, s1, 0
.LBB0_2:                                ; =>This Inner Loop Header: Depth=1
	s_load_dwordx2 s[18:19], s[14:15], 0x0
                                        ; implicit-def: $vgpr7_vgpr8
	s_mov_b32 s0, exec_lo
	s_waitcnt lgkmcnt(0)
	v_or_b32_e32 v4, s19, v6
	v_cmpx_ne_u64_e32 0, v[3:4]
	s_xor_b32 s1, exec_lo, s0
	s_cbranch_execz .LBB0_4
; %bb.3:                                ;   in Loop: Header=BB0_2 Depth=1
	v_cvt_f32_u32_e32 v4, s18
	v_cvt_f32_u32_e32 v7, s19
	s_sub_u32 s0, 0, s18
	s_subb_u32 s20, 0, s19
	v_fmac_f32_e32 v4, 0x4f800000, v7
	v_rcp_f32_e32 v4, v4
	v_mul_f32_e32 v4, 0x5f7ffffc, v4
	v_mul_f32_e32 v7, 0x2f800000, v4
	v_trunc_f32_e32 v7, v7
	v_fmac_f32_e32 v4, 0xcf800000, v7
	v_cvt_u32_f32_e32 v7, v7
	v_cvt_u32_f32_e32 v4, v4
	v_mul_lo_u32 v8, s0, v7
	v_mul_hi_u32 v9, s0, v4
	v_mul_lo_u32 v10, s20, v4
	v_add_nc_u32_e32 v8, v9, v8
	v_mul_lo_u32 v9, s0, v4
	v_add_nc_u32_e32 v8, v8, v10
	v_mul_hi_u32 v10, v4, v9
	v_mul_lo_u32 v11, v4, v8
	v_mul_hi_u32 v12, v4, v8
	v_mul_hi_u32 v13, v7, v9
	v_mul_lo_u32 v9, v7, v9
	v_mul_hi_u32 v14, v7, v8
	v_mul_lo_u32 v8, v7, v8
	v_add_co_u32 v10, vcc_lo, v10, v11
	v_add_co_ci_u32_e32 v11, vcc_lo, 0, v12, vcc_lo
	v_add_co_u32 v9, vcc_lo, v10, v9
	v_add_co_ci_u32_e32 v9, vcc_lo, v11, v13, vcc_lo
	v_add_co_ci_u32_e32 v10, vcc_lo, 0, v14, vcc_lo
	v_add_co_u32 v8, vcc_lo, v9, v8
	v_add_co_ci_u32_e32 v9, vcc_lo, 0, v10, vcc_lo
	v_add_co_u32 v4, vcc_lo, v4, v8
	v_add_co_ci_u32_e32 v7, vcc_lo, v7, v9, vcc_lo
	v_mul_hi_u32 v8, s0, v4
	v_mul_lo_u32 v10, s20, v4
	v_mul_lo_u32 v9, s0, v7
	v_add_nc_u32_e32 v8, v8, v9
	v_mul_lo_u32 v9, s0, v4
	v_add_nc_u32_e32 v8, v8, v10
	v_mul_hi_u32 v10, v4, v9
	v_mul_lo_u32 v11, v4, v8
	v_mul_hi_u32 v12, v4, v8
	v_mul_hi_u32 v13, v7, v9
	v_mul_lo_u32 v9, v7, v9
	v_mul_hi_u32 v14, v7, v8
	v_mul_lo_u32 v8, v7, v8
	v_add_co_u32 v10, vcc_lo, v10, v11
	v_add_co_ci_u32_e32 v11, vcc_lo, 0, v12, vcc_lo
	v_add_co_u32 v9, vcc_lo, v10, v9
	v_add_co_ci_u32_e32 v9, vcc_lo, v11, v13, vcc_lo
	v_add_co_ci_u32_e32 v10, vcc_lo, 0, v14, vcc_lo
	v_add_co_u32 v8, vcc_lo, v9, v8
	v_add_co_ci_u32_e32 v9, vcc_lo, 0, v10, vcc_lo
	v_add_co_u32 v4, vcc_lo, v4, v8
	v_add_co_ci_u32_e32 v11, vcc_lo, v7, v9, vcc_lo
	v_mul_hi_u32 v13, v5, v4
	v_mad_u64_u32 v[9:10], null, v6, v4, 0
	v_mad_u64_u32 v[7:8], null, v5, v11, 0
	;; [unrolled: 1-line block ×3, first 2 shown]
	v_add_co_u32 v4, vcc_lo, v13, v7
	v_add_co_ci_u32_e32 v7, vcc_lo, 0, v8, vcc_lo
	v_add_co_u32 v4, vcc_lo, v4, v9
	v_add_co_ci_u32_e32 v4, vcc_lo, v7, v10, vcc_lo
	v_add_co_ci_u32_e32 v7, vcc_lo, 0, v12, vcc_lo
	v_add_co_u32 v4, vcc_lo, v4, v11
	v_add_co_ci_u32_e32 v9, vcc_lo, 0, v7, vcc_lo
	v_mul_lo_u32 v10, s19, v4
	v_mad_u64_u32 v[7:8], null, s18, v4, 0
	v_mul_lo_u32 v11, s18, v9
	v_sub_co_u32 v7, vcc_lo, v5, v7
	v_add3_u32 v8, v8, v11, v10
	v_sub_nc_u32_e32 v10, v6, v8
	v_subrev_co_ci_u32_e64 v10, s0, s19, v10, vcc_lo
	v_add_co_u32 v11, s0, v4, 2
	v_add_co_ci_u32_e64 v12, s0, 0, v9, s0
	v_sub_co_u32 v13, s0, v7, s18
	v_sub_co_ci_u32_e32 v8, vcc_lo, v6, v8, vcc_lo
	v_subrev_co_ci_u32_e64 v10, s0, 0, v10, s0
	v_cmp_le_u32_e32 vcc_lo, s18, v13
	v_cmp_eq_u32_e64 s0, s19, v8
	v_cndmask_b32_e64 v13, 0, -1, vcc_lo
	v_cmp_le_u32_e32 vcc_lo, s19, v10
	v_cndmask_b32_e64 v14, 0, -1, vcc_lo
	v_cmp_le_u32_e32 vcc_lo, s18, v7
	;; [unrolled: 2-line block ×3, first 2 shown]
	v_cndmask_b32_e64 v15, 0, -1, vcc_lo
	v_cmp_eq_u32_e32 vcc_lo, s19, v10
	v_cndmask_b32_e64 v7, v15, v7, s0
	v_cndmask_b32_e32 v10, v14, v13, vcc_lo
	v_add_co_u32 v13, vcc_lo, v4, 1
	v_add_co_ci_u32_e32 v14, vcc_lo, 0, v9, vcc_lo
	v_cmp_ne_u32_e32 vcc_lo, 0, v10
	v_cndmask_b32_e32 v8, v14, v12, vcc_lo
	v_cndmask_b32_e32 v10, v13, v11, vcc_lo
	v_cmp_ne_u32_e32 vcc_lo, 0, v7
	v_cndmask_b32_e32 v8, v9, v8, vcc_lo
	v_cndmask_b32_e32 v7, v4, v10, vcc_lo
.LBB0_4:                                ;   in Loop: Header=BB0_2 Depth=1
	s_andn2_saveexec_b32 s0, s1
	s_cbranch_execz .LBB0_6
; %bb.5:                                ;   in Loop: Header=BB0_2 Depth=1
	v_cvt_f32_u32_e32 v4, s18
	s_sub_i32 s1, 0, s18
	v_rcp_iflag_f32_e32 v4, v4
	v_mul_f32_e32 v4, 0x4f7ffffe, v4
	v_cvt_u32_f32_e32 v4, v4
	v_mul_lo_u32 v7, s1, v4
	v_mul_hi_u32 v7, v4, v7
	v_add_nc_u32_e32 v4, v4, v7
	v_mul_hi_u32 v4, v5, v4
	v_mul_lo_u32 v7, v4, s18
	v_add_nc_u32_e32 v8, 1, v4
	v_sub_nc_u32_e32 v7, v5, v7
	v_subrev_nc_u32_e32 v9, s18, v7
	v_cmp_le_u32_e32 vcc_lo, s18, v7
	v_cndmask_b32_e32 v7, v7, v9, vcc_lo
	v_cndmask_b32_e32 v4, v4, v8, vcc_lo
	v_cmp_le_u32_e32 vcc_lo, s18, v7
	v_add_nc_u32_e32 v8, 1, v4
	v_cndmask_b32_e32 v7, v4, v8, vcc_lo
	v_mov_b32_e32 v8, v3
.LBB0_6:                                ;   in Loop: Header=BB0_2 Depth=1
	s_or_b32 exec_lo, exec_lo, s0
	s_load_dwordx2 s[0:1], s[6:7], 0x0
	v_mul_lo_u32 v4, v8, s18
	v_mul_lo_u32 v11, v7, s19
	v_mad_u64_u32 v[9:10], null, v7, s18, 0
	s_add_u32 s16, s16, 1
	s_addc_u32 s17, s17, 0
	s_add_u32 s6, s6, 8
	s_addc_u32 s7, s7, 0
	;; [unrolled: 2-line block ×3, first 2 shown]
	v_add3_u32 v4, v10, v11, v4
	v_sub_co_u32 v5, vcc_lo, v5, v9
	v_sub_co_ci_u32_e32 v4, vcc_lo, v6, v4, vcc_lo
	s_waitcnt lgkmcnt(0)
	v_mul_lo_u32 v6, s1, v5
	v_mul_lo_u32 v4, s0, v4
	v_mad_u64_u32 v[1:2], null, s0, v5, v[1:2]
	v_cmp_ge_u64_e64 s0, s[16:17], s[10:11]
	s_and_b32 vcc_lo, exec_lo, s0
	v_add3_u32 v2, v6, v2, v4
	s_cbranch_vccnz .LBB0_9
; %bb.7:                                ;   in Loop: Header=BB0_2 Depth=1
	v_mov_b32_e32 v5, v7
	v_mov_b32_e32 v6, v8
	s_branch .LBB0_2
.LBB0_8:
	v_mov_b32_e32 v8, v6
	v_mov_b32_e32 v7, v5
.LBB0_9:
	s_lshl_b64 s[0:1], s[10:11], 3
	v_mul_hi_u32 v5, 0x2222223, v0
	s_add_u32 s0, s12, s0
	s_addc_u32 s1, s13, s1
                                        ; implicit-def: $vgpr21
                                        ; implicit-def: $vgpr19
                                        ; implicit-def: $vgpr17
                                        ; implicit-def: $vgpr15
                                        ; implicit-def: $vgpr27
                                        ; implicit-def: $vgpr23
                                        ; implicit-def: $vgpr62
                                        ; implicit-def: $vgpr11
                                        ; implicit-def: $vgpr35
                                        ; implicit-def: $vgpr37
                                        ; implicit-def: $vgpr39
                                        ; implicit-def: $vgpr33
                                        ; implicit-def: $vgpr46
                                        ; implicit-def: $vgpr31
                                        ; implicit-def: $vgpr64
                                        ; implicit-def: $vgpr43
                                        ; implicit-def: $vgpr25
                                        ; implicit-def: $vgpr13
                                        ; implicit-def: $vgpr50
                                        ; implicit-def: $vgpr58
                                        ; implicit-def: $vgpr60
                                        ; implicit-def: $vgpr56
                                        ; implicit-def: $vgpr54
                                        ; implicit-def: $vgpr52
                                        ; implicit-def: $vgpr66
                                        ; implicit-def: $vgpr48
                                        ; implicit-def: $vgpr41
                                        ; implicit-def: $vgpr29
	s_load_dwordx2 s[0:1], s[0:1], 0x0
	s_load_dwordx2 s[4:5], s[4:5], 0x20
	s_waitcnt lgkmcnt(0)
	v_mul_lo_u32 v6, s0, v8
	v_mul_lo_u32 v9, s1, v7
	v_mad_u64_u32 v[3:4], null, s0, v7, v[1:2]
	v_mul_u32_u24_e32 v1, 0x78, v5
	v_cmp_gt_u64_e32 vcc_lo, s[4:5], v[7:8]
                                        ; implicit-def: $vgpr7
	v_sub_nc_u32_e32 v2, v0, v1
	v_add3_u32 v4, v9, v4, v6
                                        ; implicit-def: $vgpr9
	v_or_b32_e32 v0, 0x780, v2
	v_lshlrev_b64 v[4:5], 3, v[3:4]
	s_and_saveexec_b32 s1, vcc_lo
	s_cbranch_execz .LBB0_11
; %bb.10:
	v_mov_b32_e32 v3, 0
	v_add_co_u32 v30, s0, s2, v4
	v_add_co_ci_u32_e64 v31, s0, s3, v5, s0
	v_lshlrev_b64 v[6:7], 3, v[2:3]
	v_mov_b32_e32 v1, v3
	v_lshlrev_b64 v[22:23], 3, v[0:1]
	v_add_co_u32 v6, s0, v30, v6
	v_add_co_ci_u32_e64 v7, s0, v31, v7, s0
	v_add_co_u32 v8, s0, 0x800, v6
	v_add_co_ci_u32_e64 v9, s0, 0, v7, s0
	v_add_co_u32 v10, s0, 0x2000, v6
	v_add_co_ci_u32_e64 v11, s0, 0, v7, s0
	v_add_co_u32 v14, s0, 0x1000, v6
	v_add_co_ci_u32_e64 v15, s0, 0, v7, s0
	v_add_co_u32 v18, s0, 0x3800, v6
	v_add_co_ci_u32_e64 v19, s0, 0, v7, s0
	v_add_co_u32 v16, s0, 0x2800, v6
	v_add_co_ci_u32_e64 v17, s0, 0, v7, s0
	v_add_co_u32 v20, s0, 0x4000, v6
	v_add_co_ci_u32_e64 v21, s0, 0, v7, s0
	v_add_co_u32 v34, s0, 0x4800, v6
	v_add_co_ci_u32_e64 v35, s0, 0, v7, s0
	v_add_co_u32 v36, s0, 0x5800, v6
	v_add_co_ci_u32_e64 v37, s0, 0, v7, s0
	v_add_co_u32 v67, s0, 0x6000, v6
	v_add_co_ci_u32_e64 v68, s0, 0, v7, s0
	v_add_co_u32 v42, s0, 0x1800, v6
	v_add_co_ci_u32_e64 v43, s0, 0, v7, s0
	v_add_co_u32 v26, s0, 0x3000, v6
	v_add_co_ci_u32_e64 v27, s0, 0, v7, s0
	v_add_co_u32 v22, s0, v30, v22
	v_add_co_ci_u32_e64 v23, s0, v31, v23, s0
	v_add_co_u32 v32, s0, 0x5000, v6
	v_add_co_ci_u32_e64 v33, s0, 0, v7, s0
	v_add_co_u32 v69, s0, 0x6800, v6
	s_clause 0x3
	global_load_dwordx2 v[28:29], v[6:7], off
	global_load_dwordx2 v[12:13], v[6:7], off offset:960
	global_load_dwordx2 v[24:25], v[8:9], off offset:1792
	;; [unrolled: 1-line block ×3, first 2 shown]
	v_add_co_ci_u32_e64 v70, s0, 0, v7, s0
	s_clause 0x19
	global_load_dwordx2 v[40:41], v[8:9], off offset:832
	global_load_dwordx2 v[6:7], v[6:7], off offset:1920
	;; [unrolled: 1-line block ×12, first 2 shown]
	global_load_dwordx2 v[45:46], v[22:23], off
	global_load_dwordx2 v[22:23], v[26:27], off offset:1152
	global_load_dwordx2 v[14:15], v[34:35], off offset:768
	;; [unrolled: 1-line block ×13, first 2 shown]
.LBB0_11:
	s_or_b32 exec_lo, exec_lo, s1
	s_waitcnt vmcnt(9)
	v_add_f32_e32 v1, v55, v51
	s_waitcnt vmcnt(4)
	v_add_f32_e32 v3, v57, v47
	v_add_f32_e32 v74, v47, v28
	v_sub_f32_e32 v44, v55, v57
	v_sub_f32_e32 v67, v47, v51
	v_fma_f32 v1, -0.5, v1, v28
	v_fmac_f32_e32 v28, -0.5, v3
	v_sub_f32_e32 v3, v51, v47
	v_sub_f32_e32 v69, v57, v55
	;; [unrolled: 1-line block ×3, first 2 shown]
	v_add_f32_e32 v80, v50, v66
	v_sub_f32_e32 v70, v48, v58
	v_add_f32_e32 v3, v44, v3
	v_add_f32_e32 v44, v59, v53
	;; [unrolled: 1-line block ×3, first 2 shown]
	v_sub_f32_e32 v67, v59, v49
	v_sub_f32_e32 v69, v65, v53
	v_fmamk_f32 v71, v68, 0x3f737871, v28
	v_fma_f32 v73, -0.5, v44, v40
	v_sub_f32_e32 v44, v53, v65
	v_add_f32_e32 v78, v65, v40
	v_fmac_f32_e32 v28, 0xbf737871, v68
	v_add_f32_e32 v76, v49, v65
	v_sub_f32_e32 v82, v53, v59
	v_add_f32_e32 v79, v67, v44
	v_sub_f32_e32 v44, v49, v59
	;; [unrolled: 2-line block ×3, first 2 shown]
	v_sub_f32_e32 v65, v54, v66
	v_fmac_f32_e32 v71, 0xbf167918, v70
	v_add_f32_e32 v77, v44, v69
	v_fma_f32 v69, -0.5, v67, v41
	v_add_f32_e32 v67, v66, v41
	v_fmac_f32_e32 v41, -0.5, v80
	v_sub_f32_e32 v80, v60, v50
	v_fmac_f32_e32 v28, 0x3f167918, v70
	v_sub_f32_e32 v75, v54, v60
	v_fmac_f32_e32 v40, -0.5, v76
	v_sub_f32_e32 v76, v66, v50
	v_fmamk_f32 v44, v82, 0xbf737871, v41
	v_fmac_f32_e32 v41, 0x3f737871, v82
	v_sub_f32_e32 v66, v66, v54
	v_sub_f32_e32 v81, v50, v60
	v_add_f32_e32 v80, v80, v65
	v_fmamk_f32 v65, v83, 0x3f737871, v69
	v_fmac_f32_e32 v71, 0x3e9e377a, v3
	v_fmac_f32_e32 v28, 0x3e9e377a, v3
	v_fmamk_f32 v3, v75, 0x3f737871, v40
	v_fmac_f32_e32 v40, 0xbf737871, v75
	v_fmac_f32_e32 v44, 0x3f167918, v83
	;; [unrolled: 1-line block ×3, first 2 shown]
	v_add_f32_e32 v84, v81, v66
	v_fmamk_f32 v66, v76, 0xbf737871, v73
	v_fmac_f32_e32 v65, 0x3f167918, v82
	v_add_f32_e32 v53, v53, v78
	v_fmac_f32_e32 v3, 0xbf167918, v76
	v_fmac_f32_e32 v40, 0x3f167918, v76
	;; [unrolled: 1-line block ×4, first 2 shown]
	v_add_f32_e32 v74, v51, v74
	v_fmamk_f32 v85, v70, 0xbf737871, v1
	v_fmac_f32_e32 v66, 0xbf167918, v75
	v_fmac_f32_e32 v65, 0x3e9e377a, v84
	v_add_f32_e32 v59, v59, v53
	v_fmac_f32_e32 v3, 0x3e9e377a, v79
	v_fmac_f32_e32 v40, 0x3e9e377a, v79
	v_add_f32_e32 v74, v55, v74
	v_fmac_f32_e32 v85, 0xbf167918, v68
	v_fmac_f32_e32 v66, 0x3e9e377a, v77
	v_mul_f32_e32 v87, 0xbf167918, v65
	v_mul_f32_e32 v88, 0xbf737871, v44
	v_mul_f32_e32 v53, 0xbf737871, v41
	v_add_f32_e32 v49, v49, v59
	v_mul_u32_u24_e32 v59, 10, v2
	v_fmac_f32_e32 v1, 0x3f737871, v70
	v_add_f32_e32 v86, v57, v74
	v_fmac_f32_e32 v85, 0x3e9e377a, v72
	v_fmac_f32_e32 v87, 0x3f4f1bbd, v66
	;; [unrolled: 1-line block ×4, first 2 shown]
	v_lshl_add_u32 v74, v59, 2, 0
	v_fmac_f32_e32 v73, 0x3f737871, v76
	v_fmac_f32_e32 v1, 0x3f167918, v68
	v_add_f32_e32 v59, v32, v30
	s_waitcnt vmcnt(3)
	v_add_f32_e32 v68, v36, v42
	v_add_f32_e32 v78, v49, v86
	;; [unrolled: 1-line block ×5, first 2 shown]
	v_fmac_f32_e32 v73, 0x3f167918, v75
	v_fmac_f32_e32 v1, 0x3e9e377a, v72
	v_add_f32_e32 v72, v42, v12
	v_fma_f32 v59, -0.5, v59, v12
	v_fmac_f32_e32 v12, -0.5, v68
	v_sub_f32_e32 v68, v31, v33
	v_fmac_f32_e32 v69, 0xbf737871, v83
	ds_write2_b64 v74, v[78:79], v[80:81] offset1:1
	v_fmac_f32_e32 v73, 0x3e9e377a, v77
	v_sub_f32_e32 v76, v86, v49
	v_sub_f32_e32 v49, v30, v42
	;; [unrolled: 1-line block ×3, first 2 shown]
	v_fmamk_f32 v79, v68, 0x3f737871, v12
	v_sub_f32_e32 v80, v43, v37
	v_sub_f32_e32 v77, v42, v30
	;; [unrolled: 1-line block ×3, first 2 shown]
	v_fmac_f32_e32 v12, 0xbf737871, v68
	v_fmac_f32_e32 v69, 0xbf167918, v82
	v_sub_f32_e32 v70, v85, v87
	v_add_f32_e32 v49, v75, v49
	v_fmac_f32_e32 v79, 0xbf167918, v80
	v_add_f32_e32 v81, v78, v77
	v_fmac_f32_e32 v12, 0x3f167918, v80
	v_add_f32_e32 v77, v38, v45
	s_waitcnt vmcnt(1)
	v_add_f32_e32 v78, v34, v63
	v_sub_f32_e32 v83, v63, v45
	v_sub_f32_e32 v85, v34, v38
	v_fmac_f32_e32 v69, 0x3e9e377a, v84
	v_fmac_f32_e32 v79, 0x3e9e377a, v49
	v_fma_f32 v84, -0.5, v77, v24
	v_add_f32_e32 v77, v63, v24
	v_fmac_f32_e32 v24, -0.5, v78
	v_fmac_f32_e32 v12, 0x3e9e377a, v49
	v_add_f32_e32 v49, v85, v83
	v_sub_f32_e32 v78, v45, v63
	v_sub_f32_e32 v83, v38, v34
	v_add_f32_e32 v87, v39, v46
	v_add_f32_e32 v95, v64, v25
	v_sub_f32_e32 v71, v71, v88
	v_sub_f32_e32 v86, v46, v39
	v_add_f32_e32 v78, v83, v78
	v_add_f32_e32 v83, v35, v64
	v_fma_f32 v94, -0.5, v87, v25
	v_sub_f32_e32 v87, v63, v34
	v_sub_f32_e32 v85, v64, v35
	;; [unrolled: 1-line block ×3, first 2 shown]
	v_fmac_f32_e32 v25, -0.5, v83
	v_sub_f32_e32 v83, v45, v38
	v_sub_f32_e32 v88, v39, v35
	;; [unrolled: 1-line block ×4, first 2 shown]
	v_fmamk_f32 v97, v87, 0x3f737871, v94
	v_fmamk_f32 v96, v83, 0xbf737871, v25
	v_fmac_f32_e32 v25, 0x3f737871, v83
	v_fmamk_f32 v93, v86, 0x3f737871, v24
	v_fmac_f32_e32 v24, 0xbf737871, v86
	v_add_f32_e32 v63, v88, v63
	v_fmac_f32_e32 v96, 0x3f167918, v87
	v_fmac_f32_e32 v25, 0xbf167918, v87
	v_add_f32_e32 v88, v89, v64
	v_fmamk_f32 v98, v85, 0xbf737871, v84
	v_fmac_f32_e32 v97, 0x3f167918, v83
	v_mul_f32_e32 v82, 0xbf167918, v69
	v_fmac_f32_e32 v93, 0xbf167918, v85
	v_fmac_f32_e32 v24, 0x3f167918, v85
	;; [unrolled: 1-line block ×4, first 2 shown]
	v_add_f32_e32 v63, v30, v72
	v_fmamk_f32 v72, v80, 0xbf737871, v59
	v_add_f32_e32 v45, v45, v77
	v_fmac_f32_e32 v98, 0xbf167918, v86
	v_fmac_f32_e32 v97, 0x3e9e377a, v88
	;; [unrolled: 1-line block ×5, first 2 shown]
	v_add_f32_e32 v63, v32, v63
	v_fmac_f32_e32 v72, 0xbf167918, v68
	v_add_f32_e32 v38, v38, v45
	v_fmac_f32_e32 v98, 0x3e9e377a, v49
	v_mul_f32_e32 v89, 0xbf167918, v97
	v_mul_f32_e32 v90, 0xbf737871, v96
	v_mul_f32_e32 v91, 0xbf737871, v25
	v_add_f32_e32 v75, v1, v82
	v_add_f32_e32 v45, v36, v63
	;; [unrolled: 1-line block ×3, first 2 shown]
	v_fmac_f32_e32 v72, 0x3e9e377a, v81
	v_fmac_f32_e32 v89, 0x3f4f1bbd, v98
	;; [unrolled: 1-line block ×5, first 2 shown]
	v_add_f32_e32 v63, v38, v45
	v_add_f32_e32 v64, v72, v89
	;; [unrolled: 1-line block ×4, first 2 shown]
	v_add_nc_u32_e32 v34, 0x12c0, v74
	ds_write2_b64 v74, v[75:76], v[70:71] offset0:2 offset1:3
	v_fmac_f32_e32 v59, 0x3f167918, v68
	v_add_f32_e32 v68, v14, v22
	v_add_f32_e32 v70, v18, v10
	ds_write2_b64 v34, v[63:64], v[77:78] offset1:1
	v_sub_f32_e32 v63, v72, v89
	v_add_f32_e32 v72, v10, v6
	v_fma_f32 v68, -0.5, v68, v6
	v_fmac_f32_e32 v6, -0.5, v70
	v_sub_f32_e32 v75, v23, v15
	v_fmac_f32_e32 v94, 0xbf737871, v87
	v_sub_f32_e32 v64, v79, v90
	v_sub_f32_e32 v71, v45, v38
	v_sub_f32_e32 v38, v22, v10
	v_sub_f32_e32 v45, v14, v18
	v_fmamk_f32 v79, v75, 0x3f737871, v6
	v_sub_f32_e32 v76, v11, v19
	v_fmac_f32_e32 v6, 0xbf737871, v75
	v_fmac_f32_e32 v94, 0xbf167918, v83
	;; [unrolled: 1-line block ×3, first 2 shown]
	v_add_f32_e32 v38, v45, v38
	v_fmac_f32_e32 v79, 0xbf167918, v76
	v_fmac_f32_e32 v6, 0x3f167918, v76
	v_sub_f32_e32 v81, v61, v26
	s_waitcnt vmcnt(0)
	v_sub_f32_e32 v83, v20, v16
	v_fmac_f32_e32 v84, 0x3f737871, v85
	v_fmac_f32_e32 v79, 0x3e9e377a, v38
	;; [unrolled: 1-line block ×3, first 2 shown]
	v_sub_f32_e32 v78, v10, v22
	v_add_f32_e32 v38, v83, v81
	v_sub_f32_e32 v81, v26, v61
	v_sub_f32_e32 v83, v16, v20
	v_fmac_f32_e32 v84, 0x3f167918, v86
	v_sub_f32_e32 v80, v18, v14
	v_add_f32_e32 v86, v17, v27
	v_add_f32_e32 v102, v62, v9
	;; [unrolled: 1-line block ×7, first 2 shown]
	v_fma_f32 v101, -0.5, v86, v9
	v_fmac_f32_e32 v9, -0.5, v83
	v_sub_f32_e32 v83, v26, v16
	v_fma_f32 v99, -0.5, v78, v8
	v_add_f32_e32 v78, v61, v8
	v_fmac_f32_e32 v8, -0.5, v80
	v_sub_f32_e32 v80, v27, v17
	v_sub_f32_e32 v61, v61, v20
	;; [unrolled: 1-line block ×4, first 2 shown]
	v_fmamk_f32 v103, v83, 0xbf737871, v9
	v_fmac_f32_e32 v94, 0x3e9e377a, v88
	v_fmamk_f32 v100, v80, 0x3f737871, v8
	v_sub_f32_e32 v85, v62, v21
	v_fmac_f32_e32 v8, 0xbf737871, v80
	v_sub_f32_e32 v62, v62, v27
	v_sub_f32_e32 v88, v21, v17
	v_add_f32_e32 v86, v87, v86
	v_fmac_f32_e32 v103, 0x3f167918, v61
	v_fmamk_f32 v104, v61, 0x3f737871, v101
	v_add_f32_e32 v26, v26, v78
	v_fmac_f32_e32 v100, 0xbf167918, v85
	v_fmac_f32_e32 v8, 0x3f167918, v85
	v_add_f32_e32 v62, v88, v62
	v_fmac_f32_e32 v103, 0x3e9e377a, v86
	v_add_f32_e32 v72, v22, v72
	v_fmamk_f32 v105, v85, 0xbf737871, v99
	v_fmac_f32_e32 v104, 0x3f167918, v83
	v_add_f32_e32 v16, v16, v26
	v_fmac_f32_e32 v100, 0x3e9e377a, v81
	v_fmac_f32_e32 v8, 0x3e9e377a, v81
	v_fmamk_f32 v81, v76, 0xbf737871, v68
	v_add_f32_e32 v72, v14, v72
	v_fmac_f32_e32 v105, 0xbf167918, v80
	v_fmac_f32_e32 v104, 0x3e9e377a, v62
	v_add_f32_e32 v16, v20, v16
	v_mul_f32_e32 v20, 0xbf737871, v103
	v_fmac_f32_e32 v81, 0xbf167918, v75
	v_add_f32_e32 v26, v18, v72
	v_fmac_f32_e32 v105, 0x3e9e377a, v38
	v_mul_f32_e32 v72, 0xbf167918, v104
	v_fmac_f32_e32 v101, 0xbf737871, v61
	v_fmac_f32_e32 v20, 0x3e9e377a, v100
	;; [unrolled: 1-line block ×8, first 2 shown]
	v_add_f32_e32 v75, v79, v20
	v_sub_f32_e32 v79, v79, v20
	v_add_f32_e32 v20, v48, v29
	v_fmac_f32_e32 v9, 0xbf167918, v61
	v_fmac_f32_e32 v99, 0x3f737871, v85
	;; [unrolled: 1-line block ×3, first 2 shown]
	v_add_f32_e32 v61, v16, v26
	v_add_f32_e32 v62, v81, v72
	v_fmac_f32_e32 v68, 0x3e9e377a, v45
	v_sub_f32_e32 v78, v81, v72
	v_sub_f32_e32 v81, v26, v16
	v_add_f32_e32 v16, v54, v67
	v_add_f32_e32 v20, v52, v20
	;; [unrolled: 1-line block ×3, first 2 shown]
	v_sub_f32_e32 v54, v51, v55
	v_sub_f32_e32 v45, v48, v52
	;; [unrolled: 1-line block ×4, first 2 shown]
	v_add_f32_e32 v47, v58, v48
	v_fmac_f32_e32 v9, 0x3e9e377a, v86
	v_fmac_f32_e32 v99, 0x3f167918, v80
	;; [unrolled: 1-line block ×3, first 2 shown]
	v_mul_f32_e32 v49, 0xbf167918, v94
	v_fma_f32 v108, -0.5, v26, v29
	v_fmac_f32_e32 v29, -0.5, v47
	v_mul_f32_e32 v83, 0xbf737871, v9
	v_fmac_f32_e32 v99, 0x3e9e377a, v38
	v_mul_f32_e32 v38, 0xbf167918, v101
	v_fmac_f32_e32 v49, 0xbf4f1bbd, v84
	v_add_f32_e32 v20, v56, v20
	v_sub_f32_e32 v55, v58, v56
	v_sub_f32_e32 v56, v56, v58
	v_fmamk_f32 v90, v54, 0xbf737871, v29
	v_fmac_f32_e32 v29, 0x3f737871, v54
	v_fmamk_f32 v111, v52, 0x3f737871, v108
	v_fmac_f32_e32 v83, 0xbe9e377a, v8
	v_fmac_f32_e32 v38, 0xbf4f1bbd, v99
	v_add_f32_e32 v70, v59, v49
	v_add_nc_u32_e32 v77, 0x12d0, v74
	v_add_f32_e32 v16, v60, v16
	v_mul_f32_e32 v109, 0xbe9e377a, v41
	v_sub_f32_e32 v48, v1, v82
	v_sub_f32_e32 v47, v28, v53
	v_add_f32_e32 v1, v56, v51
	v_fmac_f32_e32 v90, 0x3f167918, v52
	v_fmac_f32_e32 v29, 0xbf167918, v52
	v_mul_f32_e32 v89, 0x3f167918, v66
	v_add_f32_e32 v112, v55, v45
	v_fmac_f32_e32 v111, 0x3f167918, v54
	v_mul_f32_e32 v113, 0x3f737871, v3
	v_fmac_f32_e32 v108, 0xbf737871, v52
	v_add_f32_e32 v76, v6, v83
	v_add_nc_u32_e32 v106, 0x2580, v74
	v_add_f32_e32 v80, v68, v38
	v_add_nc_u32_e32 v107, 0x2590, v74
	ds_write2_b64 v77, v[70:71], v[63:64] offset1:1
	ds_write2_b64 v106, v[61:62], v[75:76] offset1:1
	;; [unrolled: 1-line block ×3, first 2 shown]
	v_add_f32_e32 v92, v58, v20
	v_add_f32_e32 v110, v50, v16
	v_fmac_f32_e32 v109, 0x3f737871, v40
	ds_write_b64 v74, v[47:48] offset:32
	v_fmac_f32_e32 v90, 0x3e9e377a, v1
	v_fmac_f32_e32 v29, 0x3e9e377a, v1
	;; [unrolled: 1-line block ×4, first 2 shown]
	v_sub_f32_e32 v47, v6, v83
	v_fmac_f32_e32 v113, 0x3e9e377a, v44
	v_mad_i32_i24 v1, 0xffffffdc, v2, v74
	v_fmac_f32_e32 v108, 0xbf167918, v54
	v_mul_f32_e32 v6, 0xbf4f1bbd, v69
	v_sub_f32_e32 v41, v59, v49
	v_sub_f32_e32 v40, v12, v91
	;; [unrolled: 1-line block ×3, first 2 shown]
	v_add_f32_e32 v85, v110, v92
	v_add_f32_e32 v86, v111, v89
	;; [unrolled: 1-line block ×4, first 2 shown]
	v_add_nc_u32_e32 v20, 0x2400, v1
	v_add_nc_u32_e32 v78, 0x1200, v1
	;; [unrolled: 1-line block ×3, first 2 shown]
	v_fmac_f32_e32 v108, 0x3e9e377a, v112
	v_fmac_f32_e32 v6, 0x3f167918, v73
	v_add_f32_e32 v12, v46, v95
	v_add_f32_e32 v46, v43, v13
	v_add_nc_u32_e32 v3, 0x200, v1
	v_add_nc_u32_e32 v81, 0x2c00, v1
	;; [unrolled: 1-line block ×9, first 2 shown]
	ds_write_b64 v74, v[40:41] offset:4832
	ds_write_b64 v74, v[47:48] offset:9632
	s_waitcnt lgkmcnt(0)
	s_barrier
	buffer_gl0_inv
	v_add_nc_u32_e32 v83, 0x1a00, v1
	v_add_nc_u32_e32 v26, 0x2000, v1
	ds_read2_b32 v[40:41], v1 offset1:120
	ds_read2_b32 v[44:45], v3 offset0:112 offset1:232
	ds_read2_b32 v[67:68], v16 offset0:80 offset1:200
	;; [unrolled: 1-line block ×14, first 2 shown]
	s_waitcnt lgkmcnt(0)
	s_barrier
	v_add_f32_e32 v91, v108, v6
	buffer_gl0_inv
	ds_write2_b64 v74, v[85:86], v[87:88] offset1:1
	v_sub_f32_e32 v86, v108, v6
	v_add_f32_e32 v6, v39, v12
	v_add_f32_e32 v12, v31, v46
	v_sub_f32_e32 v85, v29, v109
	v_add_f32_e32 v29, v33, v31
	v_add_f32_e32 v39, v37, v43
	v_sub_f32_e32 v30, v30, v32
	v_add_f32_e32 v12, v33, v12
	v_sub_f32_e32 v32, v43, v31
	v_sub_f32_e32 v31, v31, v43
	;; [unrolled: 1-line block ×4, first 2 shown]
	v_mul_f32_e32 v43, 0xbe9e377a, v25
	v_sub_f32_e32 v25, v33, v37
	v_add_f32_e32 v33, v37, v12
	v_fma_f32 v37, -0.5, v29, v13
	v_fmac_f32_e32 v13, -0.5, v39
	v_add_f32_e32 v6, v35, v6
	v_fmac_f32_e32 v43, 0x3f737871, v24
	v_add_f32_e32 v12, v42, v32
	v_fmamk_f32 v35, v36, 0x3f737871, v37
	v_fmac_f32_e32 v37, 0xbf737871, v36
	v_fmamk_f32 v29, v30, 0xbf737871, v13
	v_fmac_f32_e32 v13, 0x3f737871, v30
	v_add_f32_e32 v24, v25, v31
	v_fmac_f32_e32 v35, 0x3f167918, v30
	v_fmac_f32_e32 v37, 0xbf167918, v30
	;; [unrolled: 1-line block ×4, first 2 shown]
	v_mul_f32_e32 v30, 0x3f737871, v93
	v_mul_f32_e32 v31, 0x3f167918, v98
	v_add_f32_e32 v27, v27, v102
	v_fmac_f32_e32 v35, 0x3e9e377a, v12
	v_fmac_f32_e32 v13, 0x3e9e377a, v24
	;; [unrolled: 1-line block ×6, first 2 shown]
	v_add_f32_e32 v25, v13, v43
	v_sub_f32_e32 v12, v13, v43
	v_add_f32_e32 v24, v29, v30
	v_sub_f32_e32 v30, v29, v30
	v_sub_f32_e32 v29, v35, v31
	v_add_f32_e32 v32, v35, v31
	v_add_f32_e32 v31, v6, v33
	;; [unrolled: 1-line block ×3, first 2 shown]
	v_sub_f32_e32 v43, v33, v6
	v_add_f32_e32 v6, v17, v27
	v_add_f32_e32 v27, v15, v23
	v_sub_f32_e32 v14, v22, v14
	v_add_f32_e32 v17, v23, v35
	v_sub_f32_e32 v22, v11, v23
	v_sub_f32_e32 v23, v23, v11
	v_sub_f32_e32 v10, v10, v18
	v_add_f32_e32 v11, v19, v11
	v_fma_f32 v27, -0.5, v27, v7
	v_sub_f32_e32 v18, v19, v15
	v_mul_f32_e32 v9, 0xbe9e377a, v9
	v_mul_f32_e32 v36, 0xbf4f1bbd, v94
	v_fmac_f32_e32 v7, -0.5, v11
	v_fmamk_f32 v11, v10, 0x3f737871, v27
	v_fmac_f32_e32 v27, 0xbf737871, v10
	v_fmac_f32_e32 v9, 0x3f737871, v8
	v_add_f32_e32 v8, v18, v22
	v_fmac_f32_e32 v36, 0x3f167918, v84
	v_fmac_f32_e32 v11, 0x3f167918, v14
	;; [unrolled: 1-line block ×3, first 2 shown]
	v_fmamk_f32 v18, v14, 0xbf737871, v7
	v_fmac_f32_e32 v7, 0x3f737871, v14
	v_add_f32_e32 v17, v15, v17
	v_fmac_f32_e32 v11, 0x3e9e377a, v8
	v_fmac_f32_e32 v27, 0x3e9e377a, v8
	v_and_b32_e32 v8, 0xff, v2
	v_sub_f32_e32 v15, v15, v19
	v_add_f32_e32 v42, v37, v36
	v_sub_f32_e32 v13, v37, v36
	v_add_f32_e32 v6, v21, v6
	v_fmac_f32_e32 v18, 0x3f167918, v10
	v_fmac_f32_e32 v7, 0xbf167918, v10
	v_mul_f32_e32 v10, 0x3f167918, v105
	v_mul_f32_e32 v21, 0xbf4f1bbd, v101
	v_mul_lo_u16 v8, 0xcd, v8
	v_add_nc_u16 v36, v2, 0x78
	v_add_f32_e32 v14, v15, v23
	v_mul_f32_e32 v15, 0x3f737871, v100
	v_add_f32_e32 v33, v19, v17
	v_fmac_f32_e32 v10, 0x3f4f1bbd, v104
	v_fmac_f32_e32 v21, 0x3f167918, v99
	v_lshrrev_b16 v17, 11, v8
	v_and_b32_e32 v39, 0xff, v36
	v_fmac_f32_e32 v18, 0x3e9e377a, v14
	v_fmac_f32_e32 v7, 0x3e9e377a, v14
	;; [unrolled: 1-line block ×3, first 2 shown]
	v_sub_f32_e32 v89, v111, v89
	v_sub_f32_e32 v90, v90, v113
	;; [unrolled: 1-line block ×3, first 2 shown]
	v_mul_lo_u16 v22, v17, 10
	v_sub_f32_e32 v14, v11, v10
	v_add_f32_e32 v19, v11, v10
	v_add_f32_e32 v87, v27, v21
	v_sub_f32_e32 v10, v27, v21
	v_mul_lo_u16 v21, 0xcd, v39
	v_add_f32_e32 v8, v7, v9
	v_sub_f32_e32 v9, v7, v9
	v_add_f32_e32 v7, v18, v15
	v_sub_f32_e32 v15, v18, v15
	;; [unrolled: 2-line block ×3, first 2 shown]
	ds_write2_b64 v74, v[91:92], v[89:90] offset0:2 offset1:3
	v_sub_nc_u16 v22, v2, v22
	v_mov_b32_e32 v6, 9
	ds_write_b64 v74, v[85:86] offset:32
	ds_write2_b64 v34, v[31:32], v[24:25] offset1:1
	ds_write2_b64 v77, v[42:43], v[29:30] offset1:1
	ds_write_b64 v74, v[12:13] offset:4832
	ds_write2_b64 v106, v[18:19], v[7:8] offset1:1
	ds_write2_b64 v107, v[87:88], v[14:15] offset1:1
	v_lshrrev_b16 v14, 11, v21
	ds_write_b64 v74, v[9:10] offset:9632
	v_mul_u32_u24_sdwa v11, v22, v6 dst_sel:DWORD dst_unused:UNUSED_PAD src0_sel:BYTE_0 src1_sel:DWORD
	v_add_nc_u32_e32 v37, 0xf0, v2
	v_mov_b32_e32 v9, 0xcccd
	v_mul_lo_u16 v8, v14, 10
	s_waitcnt lgkmcnt(0)
	v_lshlrev_b32_e32 v7, 3, v11
	s_barrier
	buffer_gl0_inv
	v_sub_nc_u16 v18, v36, v8
	v_mul_u32_u24_sdwa v8, v37, v9 dst_sel:DWORD dst_unused:UNUSED_PAD src0_sel:WORD_0 src1_sel:DWORD
	s_clause 0x1
	global_load_dwordx4 v[29:32], v7, s[8:9]
	global_load_dwordx4 v[84:87], v7, s[8:9] offset:16
	v_cmp_gt_u32_e64 s0, 0x64, v2
	v_mul_u32_u24_sdwa v9, v18, v6 dst_sel:DWORD dst_unused:UNUSED_PAD src0_sel:BYTE_0 src1_sel:DWORD
	v_lshrrev_b32_e32 v13, 19, v8
	v_lshlrev_b32_e32 v8, 3, v9
	v_mul_lo_u16 v9, v13, 10
	v_mul_u32_u24_e32 v13, 0x190, v13
	s_clause 0x1
	global_load_dwordx4 v[88:91], v8, s[8:9]
	global_load_dwordx4 v[92:95], v8, s[8:9] offset:16
	v_sub_nc_u16 v12, v37, v9
	v_mul_u32_u24_sdwa v6, v12, v6 dst_sel:DWORD dst_unused:UNUSED_PAD src0_sel:WORD_0 src1_sel:DWORD
	v_lshlrev_b32_e32 v6, 3, v6
	s_clause 0xa
	global_load_dwordx4 v[96:99], v6, s[8:9]
	global_load_dwordx4 v[100:103], v6, s[8:9] offset:16
	global_load_dwordx4 v[104:107], v7, s[8:9] offset:32
	;; [unrolled: 1-line block ×7, first 2 shown]
	global_load_dwordx2 v[128:129], v7, s[8:9] offset:64
	global_load_dwordx2 v[8:9], v8, s[8:9] offset:64
	;; [unrolled: 1-line block ×3, first 2 shown]
	ds_read2_b32 v[6:7], v3 offset0:112 offset1:232
	ds_read2_b32 v[23:24], v16 offset0:80 offset1:200
	ds_read2_b32 v[42:43], v75 offset0:64 offset1:184
	ds_read2_b32 v[130:131], v76 offset0:32 offset1:152
	ds_read2_b32 v[132:133], v79 offset0:96 offset1:216
	s_waitcnt vmcnt(14)
	v_mul_f32_e32 v16, v45, v30
	s_waitcnt lgkmcnt(4)
	v_mul_f32_e32 v75, v7, v30
	s_waitcnt lgkmcnt(3)
	v_mul_f32_e32 v15, v23, v32
	v_mul_f32_e32 v19, v67, v32
	s_waitcnt vmcnt(13) lgkmcnt(2)
	v_mul_f32_e32 v34, v43, v85
	v_fma_f32 v77, v7, v29, -v16
	v_mul_f32_e32 v7, v64, v85
	v_fmac_f32_e32 v75, v45, v29
	ds_read2_b32 v[45:46], v78 offset0:48 offset1:168
	v_fmac_f32_e32 v15, v67, v31
	v_fma_f32 v78, v23, v31, -v19
	v_fma_f32 v32, v43, v84, -v7
	s_waitcnt lgkmcnt(2)
	v_mul_f32_e32 v16, v130, v87
	s_waitcnt vmcnt(12)
	v_mul_f32_e32 v7, v68, v91
	v_mul_f32_e32 v74, v24, v91
	;; [unrolled: 1-line block ×3, first 2 shown]
	v_fmac_f32_e32 v34, v64, v84
	v_fmac_f32_e32 v16, v65, v86
	v_fma_f32 v67, v24, v90, -v7
	ds_read2_b32 v[23:24], v83 offset0:16 offset1:136
	s_waitcnt lgkmcnt(2)
	v_mul_f32_e32 v73, v132, v89
	v_fma_f32 v79, v130, v86, -v19
	v_mul_f32_e32 v7, v71, v89
	s_waitcnt vmcnt(11)
	v_mul_f32_e32 v21, v69, v93
	ds_read2_b32 v[83:84], v26 offset0:112 offset1:232
	ds_read2_b32 v[85:86], v38 offset0:128 offset1:248
	v_fmac_f32_e32 v73, v71, v88
	v_mul_f32_e32 v76, v131, v95
	v_mul_f32_e32 v19, v66, v95
	v_fma_f32 v71, v132, v88, -v7
	s_waitcnt lgkmcnt(3)
	v_fma_f32 v30, v45, v92, -v21
	s_waitcnt vmcnt(10)
	v_mul_f32_e32 v65, v42, v99
	v_mul_f32_e32 v21, v63, v99
	ds_read2_b32 v[87:88], v20 offset0:96 offset1:216
	v_fmac_f32_e32 v74, v68, v90
	v_fmac_f32_e32 v76, v66, v94
	v_fma_f32 v68, v131, v94, -v19
	v_mul_f32_e32 v19, v72, v97
	v_fmac_f32_e32 v65, v63, v98
	v_fma_f32 v63, v42, v98, -v21
	s_waitcnt vmcnt(9) lgkmcnt(3)
	v_mul_f32_e32 v66, v23, v103
	v_mul_f32_e32 v21, v59, v103
	;; [unrolled: 1-line block ×3, first 2 shown]
	v_fma_f32 v64, v133, v96, -v19
	v_mul_f32_e32 v19, v70, v101
	v_fmac_f32_e32 v66, v59, v102
	v_fma_f32 v59, v23, v102, -v21
	s_waitcnt vmcnt(8)
	v_mul_f32_e32 v21, v55, v107
	v_mul_f32_e32 v29, v45, v93
	;; [unrolled: 1-line block ×3, first 2 shown]
	v_fmac_f32_e32 v7, v72, v96
	v_mul_f32_e32 v20, v60, v105
	v_fma_f32 v26, v46, v100, -v19
	s_waitcnt vmcnt(7) lgkmcnt(2)
	v_mul_f32_e32 v72, v84, v111
	v_mul_f32_e32 v23, v56, v111
	ds_read2_b32 v[45:46], v81 offset0:64 offset1:184
	v_fma_f32 v81, v83, v106, -v21
	s_waitcnt lgkmcnt(2)
	v_mul_f32_e32 v31, v85, v109
	v_mul_f32_e32 v21, v61, v109
	v_fmac_f32_e32 v29, v69, v92
	v_mul_f32_e32 v42, v24, v105
	v_fma_f32 v20, v24, v104, -v20
	v_mul_f32_e32 v19, v83, v107
	v_fmac_f32_e32 v72, v56, v110
	v_fma_f32 v69, v84, v110, -v23
	s_waitcnt vmcnt(6)
	v_mul_f32_e32 v23, v62, v113
	s_waitcnt lgkmcnt(1)
	v_mul_f32_e32 v56, v87, v115
	ds_read2_b32 v[83:84], v80 offset0:80 offset1:200
	v_fmac_f32_e32 v31, v61, v108
	v_fma_f32 v61, v85, v108, -v21
	v_mul_f32_e32 v21, v57, v115
	s_waitcnt vmcnt(5)
	v_mul_f32_e32 v24, v58, v117
	v_fmac_f32_e32 v19, v55, v106
	v_mul_f32_e32 v27, v86, v113
	v_fma_f32 v55, v86, v112, -v23
	v_fmac_f32_e32 v56, v57, v114
	v_mul_f32_e32 v43, v88, v117
	ds_read2_b32 v[85:86], v28 offset0:48 offset1:168
	v_fma_f32 v57, v87, v114, -v21
	v_fma_f32 v21, v88, v116, -v24
	ds_read2_b32 v[87:88], v82 offset0:32 offset1:152
	s_waitcnt vmcnt(4)
	v_mul_f32_e32 v35, v53, v121
	v_fmac_f32_e32 v25, v70, v100
	v_mul_f32_e32 v28, v51, v119
	v_mul_f32_e32 v24, v52, v123
	v_fmac_f32_e32 v42, v60, v104
	v_fmac_f32_e32 v27, v62, v112
	s_waitcnt lgkmcnt(2)
	v_fma_f32 v70, v83, v120, -v35
	s_waitcnt vmcnt(3)
	v_mul_f32_e32 v35, v49, v127
	v_fmac_f32_e32 v43, v58, v116
	v_mul_f32_e32 v80, v46, v123
	v_fma_f32 v82, v45, v118, -v28
	v_mul_f32_e32 v28, v84, v125
	v_fma_f32 v62, v46, v122, -v24
	v_mul_f32_e32 v24, v54, v125
	s_waitcnt vmcnt(1)
	v_mul_f32_e32 v46, v47, v9
	v_mul_f32_e32 v33, v83, v121
	s_waitcnt lgkmcnt(1)
	v_mul_f32_e32 v60, v85, v127
	v_fma_f32 v58, v85, v126, -v35
	v_fmac_f32_e32 v28, v54, v124
	s_waitcnt lgkmcnt(0)
	v_mul_f32_e32 v35, v87, v9
	s_waitcnt vmcnt(0)
	v_mul_f32_e32 v9, v88, v11
	v_fma_f32 v54, v84, v124, -v24
	v_mul_f32_e32 v24, v50, v129
	v_fmac_f32_e32 v60, v49, v126
	v_mul_f32_e32 v11, v48, v11
	v_fmac_f32_e32 v35, v47, v8
	v_add_f32_e32 v47, v66, v56
	v_fmac_f32_e32 v9, v48, v10
	v_mul_f32_e32 v23, v45, v119
	v_fmac_f32_e32 v33, v53, v120
	v_mul_f32_e32 v45, v86, v129
	v_fma_f32 v24, v86, v128, -v24
	v_fma_f32 v86, v87, v8, -v46
	;; [unrolled: 1-line block ×3, first 2 shown]
	v_add_f32_e32 v10, v65, v60
	v_fma_f32 v8, -0.5, v47, v44
	v_sub_f32_e32 v46, v66, v65
	v_sub_f32_e32 v47, v56, v60
	v_add_f32_e32 v48, v27, v28
	v_add_f32_e32 v49, v25, v9
	v_fmac_f32_e32 v80, v52, v122
	v_add_f32_e32 v11, v44, v65
	v_fmac_f32_e32 v44, -0.5, v10
	v_add_f32_e32 v10, v46, v47
	v_fma_f32 v85, -0.5, v48, v7
	v_add_f32_e32 v46, v7, v25
	v_add_f32_e32 v47, v55, v54
	v_fmac_f32_e32 v7, -0.5, v49
	v_add_f32_e32 v49, v26, v84
	v_add_f32_e32 v52, v31, v33
	;; [unrolled: 1-line block ×4, first 2 shown]
	v_fmac_f32_e32 v23, v51, v118
	v_fmac_f32_e32 v45, v50, v128
	v_sub_f32_e32 v48, v27, v25
	v_sub_f32_e32 v50, v28, v9
	v_fma_f32 v87, -0.5, v47, v64
	v_add_f32_e32 v88, v64, v26
	v_fmac_f32_e32 v64, -0.5, v49
	v_sub_f32_e32 v49, v55, v26
	v_sub_f32_e32 v51, v54, v84
	;; [unrolled: 1-line block ×3, first 2 shown]
	v_fma_f32 v91, -0.5, v52, v73
	v_add_f32_e32 v52, v29, v35
	v_sub_f32_e32 v94, v31, v29
	v_sub_f32_e32 v95, v33, v35
	v_fma_f32 v92, -0.5, v92, v71
	v_add_f32_e32 v93, v71, v30
	v_sub_f32_e32 v104, v61, v30
	v_sub_f32_e32 v105, v70, v86
	v_fmac_f32_e32 v71, -0.5, v97
	v_sub_f32_e32 v106, v31, v33
	v_sub_f32_e32 v98, v55, v54
	v_fmamk_f32 v89, v53, 0xbf737871, v64
	v_fmac_f32_e32 v64, 0x3f737871, v53
	v_sub_f32_e32 v100, v25, v9
	v_add_f32_e32 v49, v49, v51
	v_add_f32_e32 v48, v48, v50
	;; [unrolled: 1-line block ×5, first 2 shown]
	v_fmac_f32_e32 v73, -0.5, v52
	v_add_f32_e32 v107, v94, v95
	v_add_f32_e32 v104, v104, v105
	v_sub_f32_e32 v105, v61, v70
	v_fmamk_f32 v95, v106, 0xbf737871, v71
	v_fmac_f32_e32 v71, 0x3f737871, v106
	v_sub_f32_e32 v108, v29, v35
	v_sub_f32_e32 v47, v59, v57
	v_fmamk_f32 v90, v98, 0x3f737871, v7
	v_fmac_f32_e32 v7, 0xbf737871, v98
	v_sub_f32_e32 v101, v26, v84
	v_fmac_f32_e32 v64, 0xbf167918, v100
	v_fma_f32 v50, -0.5, v50, v41
	v_add_f32_e32 v102, v41, v74
	v_fmac_f32_e32 v41, -0.5, v51
	v_sub_f32_e32 v109, v68, v69
	v_fmamk_f32 v94, v105, 0x3f737871, v73
	v_fmac_f32_e32 v73, 0xbf737871, v105
	v_sub_f32_e32 v110, v30, v86
	v_fmac_f32_e32 v71, 0xbf167918, v108
	v_fmamk_f32 v83, v47, 0x3f737871, v44
	v_fmac_f32_e32 v44, 0xbf737871, v47
	v_sub_f32_e32 v99, v63, v58
	v_fmac_f32_e32 v7, 0x3f167918, v101
	v_fmac_f32_e32 v64, 0x3e9e377a, v49
	v_sub_f32_e32 v51, v76, v74
	v_sub_f32_e32 v96, v72, v80
	v_fmamk_f32 v111, v109, 0x3f737871, v41
	v_fmac_f32_e32 v41, 0xbf737871, v109
	v_sub_f32_e32 v112, v67, v62
	v_fmac_f32_e32 v73, 0x3f167918, v110
	v_fmac_f32_e32 v71, 0x3e9e377a, v104
	v_fmac_f32_e32 v44, 0x3f167918, v99
	v_fmac_f32_e32 v7, 0x3e9e377a, v48
	v_mul_f32_e32 v52, 0xbf737871, v64
	v_add_f32_e32 v51, v51, v96
	v_fmac_f32_e32 v41, 0x3f167918, v112
	v_fmac_f32_e32 v73, 0x3e9e377a, v107
	v_mul_f32_e32 v96, 0xbf737871, v71
	v_fmac_f32_e32 v44, 0x3e9e377a, v10
	v_fmac_f32_e32 v52, 0xbe9e377a, v7
	;; [unrolled: 1-line block ×3, first 2 shown]
	v_sub_f32_e32 v118, v32, v20
	v_fmac_f32_e32 v96, 0xbe9e377a, v73
	v_sub_f32_e32 v119, v24, v21
	v_add_f32_e32 v114, v44, v52
	v_sub_f32_e32 v44, v44, v52
	v_sub_f32_e32 v52, v15, v16
	v_add_f32_e32 v116, v41, v96
	v_sub_f32_e32 v41, v41, v96
	v_sub_f32_e32 v96, v23, v19
	v_add_f32_e32 v97, v16, v19
	v_add_f32_e32 v113, v15, v23
	;; [unrolled: 1-line block ×3, first 2 shown]
	v_sub_f32_e32 v117, v45, v43
	v_add_f32_e32 v120, v52, v96
	v_add_f32_e32 v96, v20, v21
	v_fma_f32 v115, -0.5, v97, v40
	v_fma_f32 v113, -0.5, v113, v40
	v_add_f32_e32 v40, v40, v15
	v_sub_f32_e32 v97, v34, v42
	v_fma_f32 v119, -0.5, v96, v77
	v_add_f32_e32 v96, v75, v34
	v_mov_b32_e32 v121, 0x190
	v_mov_b32_e32 v52, 2
	v_add_f32_e32 v117, v97, v117
	v_add_f32_e32 v97, v42, v43
	;; [unrolled: 1-line block ×3, first 2 shown]
	v_sub_f32_e32 v122, v34, v45
	v_add_f32_e32 v40, v40, v16
	v_sub_f32_e32 v126, v42, v43
	v_add_f32_e32 v136, v34, v45
	v_add_f32_e32 v96, v96, v43
	v_sub_f32_e32 v34, v42, v34
	v_sub_f32_e32 v42, v43, v45
	v_add_f32_e32 v43, v32, v24
	v_mul_u32_u24_sdwa v17, v17, v121 dst_sel:DWORD dst_unused:UNUSED_PAD src0_sel:WORD_0 src1_sel:DWORD
	v_lshlrev_b32_sdwa v22, v52, v22 dst_sel:DWORD dst_unused:UNUSED_PAD src0_sel:DWORD src1_sel:BYTE_0
	v_add_f32_e32 v40, v40, v19
	v_add_f32_e32 v34, v34, v42
	;; [unrolled: 1-line block ×3, first 2 shown]
	v_fmac_f32_e32 v77, -0.5, v43
	v_fma_f32 v123, -0.5, v97, v75
	v_sub_f32_e32 v124, v32, v24
	v_fmamk_f32 v125, v122, 0x3f737871, v119
	v_sub_f32_e32 v129, v20, v21
	v_add3_u32 v133, 0, v17, v22
	v_add_f32_e32 v17, v40, v23
	v_sub_f32_e32 v40, v16, v15
	v_sub_f32_e32 v134, v19, v23
	v_fmac_f32_e32 v75, -0.5, v136
	v_sub_f32_e32 v32, v20, v32
	v_sub_f32_e32 v43, v21, v24
	v_fmamk_f32 v136, v126, 0xbf737871, v77
	v_fmac_f32_e32 v77, 0x3f737871, v126
	v_fmac_f32_e32 v119, 0xbf737871, v122
	v_sub_f32_e32 v127, v78, v82
	v_fmamk_f32 v128, v124, 0xbf737871, v123
	v_fmac_f32_e32 v125, 0x3f167918, v126
	v_sub_f32_e32 v131, v79, v81
	v_add_f32_e32 v40, v40, v134
	v_fmamk_f32 v134, v129, 0x3f737871, v75
	v_fmac_f32_e32 v75, 0xbf737871, v129
	v_add_f32_e32 v32, v32, v43
	v_fmac_f32_e32 v136, 0x3f167918, v122
	v_fmac_f32_e32 v77, 0xbf167918, v122
	;; [unrolled: 1-line block ×4, first 2 shown]
	v_fmamk_f32 v130, v127, 0xbf737871, v115
	v_fmac_f32_e32 v128, 0xbf167918, v129
	v_fmac_f32_e32 v125, 0x3e9e377a, v118
	v_fmamk_f32 v135, v131, 0x3f737871, v113
	v_fmac_f32_e32 v113, 0xbf737871, v131
	v_fmac_f32_e32 v134, 0xbf167918, v124
	;; [unrolled: 1-line block ×10, first 2 shown]
	v_mul_f32_e32 v132, 0xbf167918, v125
	v_fmac_f32_e32 v135, 0xbf167918, v127
	v_fmac_f32_e32 v113, 0x3f167918, v127
	;; [unrolled: 1-line block ×4, first 2 shown]
	v_mul_f32_e32 v32, 0xbf737871, v136
	v_mul_f32_e32 v34, 0xbf737871, v77
	v_fmac_f32_e32 v115, 0x3f167918, v131
	v_fmac_f32_e32 v123, 0x3e9e377a, v117
	v_mul_f32_e32 v43, 0xbf167918, v119
	v_fmac_f32_e32 v130, 0x3e9e377a, v120
	v_add_f32_e32 v22, v96, v45
	v_fmac_f32_e32 v132, 0x3f4f1bbd, v128
	v_fmac_f32_e32 v135, 0x3e9e377a, v40
	;; [unrolled: 1-line block ×7, first 2 shown]
	v_add_f32_e32 v137, v17, v22
	v_add_f32_e32 v40, v130, v132
	;; [unrolled: 1-line block ×4, first 2 shown]
	v_sub_f32_e32 v17, v17, v22
	v_add_f32_e32 v22, v115, v43
	v_sub_f32_e32 v118, v130, v132
	v_sub_f32_e32 v32, v135, v32
	ds_read2_b32 v[96:97], v1 offset1:120
	s_waitcnt lgkmcnt(0)
	s_barrier
	buffer_gl0_inv
	ds_write2_b32 v133, v137, v40 offset1:10
	ds_write2_b32 v133, v45, v117 offset0:20 offset1:30
	ds_write2_b32 v133, v22, v17 offset0:40 offset1:50
	;; [unrolled: 1-line block ×3, first 2 shown]
	v_add_f32_e32 v17, v103, v31
	v_sub_f32_e32 v29, v29, v31
	v_sub_f32_e32 v31, v35, v33
	;; [unrolled: 1-line block ×3, first 2 shown]
	v_fmamk_f32 v103, v108, 0x3f737871, v92
	v_add_f32_e32 v17, v17, v33
	v_sub_f32_e32 v33, v86, v70
	v_fmac_f32_e32 v92, 0xbf737871, v108
	v_add_f32_e32 v29, v29, v31
	v_add_f32_e32 v31, v102, v76
	v_fmamk_f32 v102, v110, 0xbf737871, v91
	v_add_f32_e32 v30, v30, v33
	v_fmac_f32_e32 v103, 0x3f167918, v106
	v_fmac_f32_e32 v95, 0x3f167918, v108
	;; [unrolled: 1-line block ×4, first 2 shown]
	v_sub_f32_e32 v22, v113, v34
	v_sub_f32_e32 v32, v74, v76
	;; [unrolled: 1-line block ×3, first 2 shown]
	v_mul_u32_u24_sdwa v14, v14, v121 dst_sel:DWORD dst_unused:UNUSED_PAD src0_sel:WORD_0 src1_sel:DWORD
	v_fmamk_f32 v33, v112, 0xbf737871, v50
	v_lshlrev_b32_sdwa v18, v52, v18 dst_sel:DWORD dst_unused:UNUSED_PAD src0_sel:DWORD src1_sel:BYTE_0
	v_fmac_f32_e32 v102, 0xbf167918, v105
	v_fmac_f32_e32 v103, 0x3e9e377a, v30
	;; [unrolled: 1-line block ×7, first 2 shown]
	v_add_f32_e32 v32, v32, v34
	v_add_f32_e32 v31, v31, v72
	v_fmac_f32_e32 v33, 0xbf167918, v109
	v_add3_u32 v113, 0, v14, v18
	v_fmac_f32_e32 v102, 0x3e9e377a, v29
	v_mul_f32_e32 v18, 0xbf167918, v103
	v_fmac_f32_e32 v111, 0xbf167918, v112
	v_fmac_f32_e32 v94, 0x3e9e377a, v107
	v_mul_f32_e32 v30, 0xbf737871, v95
	v_fmac_f32_e32 v50, 0x3f167918, v109
	v_fmac_f32_e32 v91, 0x3e9e377a, v29
	v_mul_f32_e32 v29, 0xbf167918, v92
	v_add_f32_e32 v17, v17, v35
	v_add_f32_e32 v14, v31, v80
	v_fmac_f32_e32 v33, 0x3e9e377a, v32
	v_fmac_f32_e32 v18, 0x3f4f1bbd, v102
	;; [unrolled: 1-line block ×6, first 2 shown]
	v_sub_f32_e32 v40, v115, v43
	v_add_f32_e32 v31, v14, v17
	v_add_f32_e32 v32, v33, v18
	;; [unrolled: 1-line block ×3, first 2 shown]
	v_sub_f32_e32 v14, v14, v17
	v_add_f32_e32 v17, v50, v29
	v_sub_f32_e32 v18, v33, v18
	v_sub_f32_e32 v30, v111, v30
	ds_write2_b32 v133, v22, v40 offset0:80 offset1:90
	ds_write2_b32 v113, v31, v32 offset1:10
	ds_write2_b32 v113, v34, v116 offset0:20 offset1:30
	ds_write2_b32 v113, v17, v14 offset0:40 offset1:50
	ds_write2_b32 v113, v18, v30 offset0:60 offset1:70
	v_add_f32_e32 v14, v46, v27
	v_sub_f32_e32 v17, v50, v29
	v_sub_f32_e32 v18, v65, v66
	;; [unrolled: 1-line block ×4, first 2 shown]
	v_add_f32_e32 v14, v14, v28
	v_sub_f32_e32 v27, v9, v28
	v_sub_f32_e32 v26, v26, v55
	;; [unrolled: 1-line block ×3, first 2 shown]
	v_fmamk_f32 v104, v100, 0x3f737871, v87
	v_fmac_f32_e32 v87, 0xbf737871, v100
	ds_write2_b32 v113, v41, v17 offset0:80 offset1:90
	v_add_f32_e32 v17, v18, v22
	v_add_f32_e32 v18, v26, v28
	v_fmamk_f32 v105, v101, 0xbf737871, v85
	v_fmac_f32_e32 v104, 0x3f167918, v53
	v_fmac_f32_e32 v89, 0x3f167918, v100
	;; [unrolled: 1-line block ×4, first 2 shown]
	v_add_f32_e32 v9, v14, v9
	v_add_f32_e32 v14, v25, v27
	;; [unrolled: 1-line block ×3, first 2 shown]
	v_fmamk_f32 v22, v99, 0xbf737871, v8
	v_lshlrev_b32_sdwa v12, v52, v12 dst_sel:DWORD dst_unused:UNUSED_PAD src0_sel:DWORD src1_sel:WORD_0
	v_fmac_f32_e32 v105, 0xbf167918, v98
	v_fmac_f32_e32 v104, 0x3e9e377a, v18
	;; [unrolled: 1-line block ×7, first 2 shown]
	v_add_f32_e32 v11, v11, v56
	v_fmac_f32_e32 v22, 0xbf167918, v47
	v_add3_u32 v106, 0, v13, v12
	v_fmac_f32_e32 v105, 0x3e9e377a, v14
	v_mul_f32_e32 v12, 0xbf167918, v104
	v_fmac_f32_e32 v83, 0xbf167918, v99
	v_fmac_f32_e32 v90, 0x3e9e377a, v48
	v_mul_f32_e32 v13, 0xbf737871, v89
	v_fmac_f32_e32 v8, 0x3f167918, v47
	v_fmac_f32_e32 v85, 0x3e9e377a, v14
	v_mul_f32_e32 v14, 0xbf167918, v87
	v_add_f32_e32 v11, v11, v60
	v_fmac_f32_e32 v22, 0x3e9e377a, v17
	v_fmac_f32_e32 v12, 0x3f4f1bbd, v105
	;; [unrolled: 1-line block ×6, first 2 shown]
	v_add_f32_e32 v10, v11, v9
	v_add_f32_e32 v17, v22, v12
	;; [unrolled: 1-line block ×3, first 2 shown]
	v_sub_f32_e32 v9, v11, v9
	v_add_f32_e32 v11, v8, v14
	ds_write2_b32 v106, v10, v17 offset1:10
	ds_write2_b32 v106, v18, v114 offset0:20 offset1:30
	ds_write2_b32 v106, v11, v9 offset0:40 offset1:50
	v_add_f32_e32 v9, v79, v81
	v_sub_f32_e32 v12, v22, v12
	v_sub_f32_e32 v13, v83, v13
	;; [unrolled: 1-line block ×3, first 2 shown]
	v_add_f32_e32 v11, v96, v78
	v_fma_f32 v99, -0.5, v9, v96
	v_add_f32_e32 v111, v78, v82
	ds_write2_b32 v106, v12, v13 offset0:60 offset1:70
	v_add_f32_e32 v10, v42, v20
	v_sub_f32_e32 v9, v78, v79
	v_sub_f32_e32 v12, v82, v81
	;; [unrolled: 1-line block ×3, first 2 shown]
	v_add_f32_e32 v11, v11, v79
	v_fmamk_f32 v101, v98, 0x3f737871, v99
	v_fma_f32 v96, -0.5, v111, v96
	v_add_f32_e32 v10, v10, v21
	v_add_f32_e32 v107, v9, v12
	v_mul_f32_e32 v108, 0x3f4f1bbd, v125
	v_add_f32_e32 v9, v11, v81
	v_fmac_f32_e32 v101, 0x3f167918, v100
	v_sub_f32_e32 v78, v79, v78
	v_sub_f32_e32 v79, v81, v82
	v_fmamk_f32 v81, v100, 0xbf737871, v96
	v_fmac_f32_e32 v96, 0x3f737871, v100
	v_add_f32_e32 v109, v10, v24
	v_fmac_f32_e32 v108, 0x3f167918, v128
	v_add_f32_e32 v110, v9, v82
	;; [unrolled: 2-line block ×3, first 2 shown]
	v_fmac_f32_e32 v81, 0x3f167918, v98
	v_fmac_f32_e32 v96, 0xbf167918, v98
	;; [unrolled: 1-line block ×3, first 2 shown]
	v_sub_f32_e32 v8, v8, v14
	v_lshl_add_u32 v49, v2, 2, 0
	v_add_nc_u32_e32 v47, 0x1e00, v1
	v_add_f32_e32 v82, v110, v109
	v_add_f32_e32 v79, v101, v108
	v_mul_f32_e32 v111, 0x3e9e377a, v136
	v_mul_f32_e32 v77, 0xbe9e377a, v77
	v_add_nc_u32_e32 v48, 0x3200, v1
	v_fmac_f32_e32 v81, 0x3e9e377a, v78
	v_fmac_f32_e32 v96, 0x3e9e377a, v78
	;; [unrolled: 1-line block ×3, first 2 shown]
	v_mul_f32_e32 v78, 0xbf4f1bbd, v119
	v_add_nc_u32_e32 v50, 0x1800, v1
	v_add_nc_u32_e32 v40, 0x800, v1
	;; [unrolled: 1-line block ×3, first 2 shown]
	ds_write2_b32 v106, v44, v8 offset0:80 offset1:90
	v_add_nc_u32_e32 v44, 0x1000, v1
	s_waitcnt lgkmcnt(0)
	s_barrier
	buffer_gl0_inv
	v_add_nc_u32_e32 v45, 0x2200, v1
	v_add_nc_u32_e32 v41, 0x2e00, v1
	;; [unrolled: 1-line block ×5, first 2 shown]
	ds_read_b32 v53, v49 offset:1920
	ds_read_b32 v83, v1 offset:13920
	ds_read2_b32 v[10:11], v1 offset1:120
	ds_read2_b32 v[34:35], v40 offset0:88 offset1:208
	ds_read2_b32 v[26:27], v44 offset0:56 offset1:176
	;; [unrolled: 1-line block ×13, first 2 shown]
	s_waitcnt lgkmcnt(0)
	s_barrier
	buffer_gl0_inv
	v_fmac_f32_e32 v111, 0x3f737871, v134
	v_fmac_f32_e32 v77, 0x3f737871, v75
	ds_write2_b32 v133, v82, v79 offset1:10
	v_add_f32_e32 v82, v68, v69
	v_fmac_f32_e32 v99, 0x3e9e377a, v107
	v_add_f32_e32 v98, v67, v62
	v_fmac_f32_e32 v78, 0x3f167918, v123
	v_add_f32_e32 v75, v81, v111
	v_add_f32_e32 v79, v96, v77
	v_sub_f32_e32 v72, v76, v72
	v_fma_f32 v76, -0.5, v82, v97
	v_add_f32_e32 v82, v97, v67
	v_sub_f32_e32 v74, v74, v80
	v_fmac_f32_e32 v97, -0.5, v98
	v_sub_f32_e32 v98, v110, v109
	v_add_f32_e32 v109, v99, v78
	v_sub_f32_e32 v101, v101, v108
	v_sub_f32_e32 v81, v81, v111
	;; [unrolled: 1-line block ×5, first 2 shown]
	ds_write2_b32 v133, v75, v79 offset0:20 offset1:30
	ds_write2_b32 v133, v109, v98 offset0:40 offset1:50
	;; [unrolled: 1-line block ×4, first 2 shown]
	v_add_f32_e32 v75, v82, v68
	v_sub_f32_e32 v67, v67, v68
	v_sub_f32_e32 v68, v62, v69
	v_fmamk_f32 v77, v74, 0x3f737871, v76
	v_fmac_f32_e32 v76, 0xbf737871, v74
	v_add_f32_e32 v61, v93, v61
	v_sub_f32_e32 v100, v69, v62
	v_add_f32_e32 v67, v67, v68
	v_fmac_f32_e32 v77, 0x3f167918, v72
	v_fmac_f32_e32 v76, 0xbf167918, v72
	v_fmamk_f32 v107, v72, 0xbf737871, v97
	v_fmac_f32_e32 v97, 0x3f737871, v72
	v_add_f32_e32 v69, v75, v69
	v_add_f32_e32 v61, v61, v70
	v_fmac_f32_e32 v77, 0x3e9e377a, v67
	v_fmac_f32_e32 v76, 0x3e9e377a, v67
	v_mul_f32_e32 v67, 0x3f4f1bbd, v103
	v_fmac_f32_e32 v97, 0xbf167918, v74
	v_fmac_f32_e32 v107, 0x3f167918, v74
	v_add_f32_e32 v62, v69, v62
	v_add_f32_e32 v61, v61, v86
	v_fmac_f32_e32 v67, 0x3f167918, v102
	v_add_f32_e32 v74, v6, v63
	v_mul_f32_e32 v69, 0xbf4f1bbd, v92
	v_add_f32_e32 v78, v63, v58
	v_add_f32_e32 v70, v62, v61
	v_sub_f32_e32 v61, v62, v61
	v_add_f32_e32 v62, v77, v67
	v_sub_f32_e32 v67, v77, v67
	v_add_f32_e32 v74, v74, v59
	v_add_f32_e32 v77, v59, v57
	v_fmac_f32_e32 v69, 0x3f167918, v91
	v_sub_f32_e32 v60, v65, v60
	v_sub_f32_e32 v56, v66, v56
	v_add_f32_e32 v66, v74, v57
	v_fma_f32 v74, -0.5, v77, v6
	v_fmac_f32_e32 v6, -0.5, v78
	v_add_f32_e32 v75, v76, v69
	v_sub_f32_e32 v69, v76, v69
	v_sub_f32_e32 v65, v63, v59
	;; [unrolled: 1-line block ×4, first 2 shown]
	v_add_f32_e32 v63, v66, v58
	v_sub_f32_e32 v57, v57, v58
	v_fmamk_f32 v58, v60, 0x3f737871, v74
	v_fmac_f32_e32 v74, 0xbf737871, v60
	v_add_f32_e32 v55, v88, v55
	v_fmamk_f32 v66, v56, 0xbf737871, v6
	v_fmac_f32_e32 v6, 0x3f737871, v56
	v_fmac_f32_e32 v58, 0x3f167918, v56
	;; [unrolled: 1-line block ×3, first 2 shown]
	v_add_f32_e32 v56, v59, v57
	v_add_f32_e32 v54, v55, v54
	v_fmac_f32_e32 v6, 0xbf167918, v60
	v_mul_f32_e32 v55, 0xbe9e377a, v64
	v_fmac_f32_e32 v66, 0x3f167918, v60
	v_add_f32_e32 v80, v80, v100
	v_mul_f32_e32 v71, 0xbe9e377a, v71
	v_fmac_f32_e32 v6, 0x3e9e377a, v56
	v_fmac_f32_e32 v55, 0x3f737871, v7
	;; [unrolled: 1-line block ×3, first 2 shown]
	v_mul_f32_e32 v68, 0x3e9e377a, v95
	v_add_f32_e32 v65, v65, v76
	v_mul_f32_e32 v57, 0x3f4f1bbd, v104
	v_add_f32_e32 v56, v6, v55
	v_sub_f32_e32 v64, v6, v55
	v_add_nc_u32_e32 v6, 0xffffff9c, v2
	v_mul_f32_e32 v60, 0x3e9e377a, v89
	v_add_f32_e32 v7, v54, v84
	v_mul_f32_e32 v54, 0xbf4f1bbd, v87
	v_fmac_f32_e32 v71, 0x3f737871, v73
	v_cndmask_b32_e64 v59, v6, v2, s0
	v_fmac_f32_e32 v97, 0x3e9e377a, v80
	v_fmac_f32_e32 v107, 0x3e9e377a, v80
	;; [unrolled: 1-line block ×7, first 2 shown]
	v_add_f32_e32 v65, v63, v7
	v_fmac_f32_e32 v54, 0x3f167918, v85
	v_sub_f32_e32 v63, v63, v7
	v_mul_i32_i24_e32 v6, 5, v59
	v_mov_b32_e32 v7, 0
	v_add_f32_e32 v73, v97, v71
	v_add_f32_e32 v72, v107, v68
	;; [unrolled: 1-line block ×4, first 2 shown]
	v_sub_f32_e32 v57, v58, v57
	v_add_f32_e32 v58, v74, v54
	v_sub_f32_e32 v60, v66, v60
	v_sub_f32_e32 v66, v74, v54
	v_lshlrev_b64 v[54:55], 3, v[6:7]
	v_mul_lo_u16 v6, v39, 41
	v_sub_f32_e32 v68, v107, v68
	v_sub_f32_e32 v71, v97, v71
	ds_write2_b32 v113, v70, v62 offset1:10
	ds_write2_b32 v113, v72, v73 offset0:20 offset1:30
	ds_write2_b32 v113, v75, v61 offset0:40 offset1:50
	;; [unrolled: 1-line block ×4, first 2 shown]
	ds_write2_b32 v106, v65, v76 offset1:10
	ds_write2_b32 v106, v77, v56 offset0:20 offset1:30
	ds_write2_b32 v106, v58, v63 offset0:40 offset1:50
	;; [unrolled: 1-line block ×3, first 2 shown]
	v_lshrrev_b16 v65, 12, v6
	v_lshrrev_b16 v6, 2, v37
	v_mov_b32_e32 v58, 0x147b
	v_add_nc_u16 v62, v2, 0x168
	v_add_co_u32 v60, s0, s8, v54
	v_mul_lo_u16 v39, 0x64, v65
	v_mul_u32_u24_sdwa v6, v6, v58 dst_sel:DWORD dst_unused:UNUSED_PAD src0_sel:WORD_0 src1_sel:DWORD
	v_add_co_ci_u32_e64 v61, s0, s9, v55, s0
	ds_write2_b32 v106, v64, v66 offset0:80 offset1:90
	v_sub_nc_u16 v91, v36, v39
	v_lshrrev_b32_e32 v73, 17, v6
	v_lshrrev_b16 v6, 2, v62
	v_add_nc_u32_e32 v39, 0x1e0, v2
	v_mov_b32_e32 v36, 5
	s_waitcnt lgkmcnt(0)
	v_mul_lo_u16 v54, 0x64, v73
	v_mul_u32_u24_sdwa v6, v6, v58 dst_sel:DWORD dst_unused:UNUSED_PAD src0_sel:WORD_0 src1_sel:DWORD
	s_barrier
	v_mul_u32_u24_sdwa v63, v91, v36 dst_sel:DWORD dst_unused:UNUSED_PAD src0_sel:BYTE_0 src1_sel:DWORD
	buffer_gl0_inv
	v_sub_nc_u16 v82, v37, v54
	v_lshrrev_b16 v37, 2, v39
	v_lshrrev_b32_e32 v77, 17, v6
	v_lshlrev_b32_e32 v6, 3, v63
	global_load_dwordx4 v[54:57], v[60:61], off offset:720
	v_mul_u32_u24_sdwa v63, v82, v36 dst_sel:DWORD dst_unused:UNUSED_PAD src0_sel:WORD_0 src1_sel:DWORD
	v_mul_u32_u24_sdwa v37, v37, v58 dst_sel:DWORD dst_unused:UNUSED_PAD src0_sel:WORD_0 src1_sel:DWORD
	v_mul_lo_u16 v58, 0x64, v77
	global_load_dwordx4 v[84:87], v6, s[8:9] offset:720
	v_cmp_lt_u32_e64 s0, 0x63, v2
	v_lshlrev_b32_e32 v63, 3, v63
	v_lshrrev_b32_e32 v66, 17, v37
	v_sub_nc_u16 v81, v62, v58
	v_lshlrev_b32_e32 v59, 2, v59
	global_load_dwordx4 v[92:95], v63, s[8:9] offset:720
	v_mul_lo_u16 v37, 0x64, v66
	v_mul_u32_u24_sdwa v58, v81, v36 dst_sel:DWORD dst_unused:UNUSED_PAD src0_sel:WORD_0 src1_sel:DWORD
	v_sub_nc_u16 v69, v39, v37
	v_lshlrev_b32_e32 v37, 3, v58
	v_mul_u32_u24_sdwa v36, v69, v36 dst_sel:DWORD dst_unused:UNUSED_PAD src0_sel:WORD_0 src1_sel:DWORD
	global_load_dwordx4 v[96:99], v37, s[8:9] offset:720
	v_lshlrev_b32_e32 v36, 3, v36
	s_clause 0xa
	global_load_dwordx4 v[100:103], v36, s[8:9] offset:720
	global_load_dwordx4 v[104:107], v[60:61], off offset:736
	global_load_dwordx4 v[108:111], v6, s[8:9] offset:736
	global_load_dwordx4 v[112:115], v63, s[8:9] offset:736
	global_load_dwordx4 v[116:119], v37, s[8:9] offset:736
	global_load_dwordx4 v[120:123], v36, s[8:9] offset:736
	global_load_dwordx2 v[124:125], v[60:61], off offset:752
	global_load_dwordx2 v[126:127], v6, s[8:9] offset:752
	global_load_dwordx2 v[128:129], v63, s[8:9] offset:752
	;; [unrolled: 1-line block ×4, first 2 shown]
	ds_read2_b32 v[62:63], v40 offset0:88 offset1:208
	ds_read2_b32 v[74:75], v44 offset0:56 offset1:176
	;; [unrolled: 1-line block ×5, first 2 shown]
	s_waitcnt vmcnt(14)
	v_mul_f32_e32 v6, v34, v55
	s_waitcnt lgkmcnt(4)
	v_mul_f32_e32 v71, v62, v55
	s_waitcnt lgkmcnt(3)
	v_mul_f32_e32 v88, v75, v57
	v_mul_f32_e32 v55, v27, v57
	s_waitcnt vmcnt(13) lgkmcnt(2)
	v_mul_f32_e32 v72, v67, v87
	v_fma_f32 v78, v62, v54, -v6
	v_mul_f32_e32 v6, v35, v85
	v_fmac_f32_e32 v71, v34, v54
	v_mul_f32_e32 v61, v63, v85
	v_fmac_f32_e32 v88, v27, v56
	v_fma_f32 v27, v75, v56, -v55
	s_waitcnt vmcnt(12)
	v_mul_f32_e32 v62, v68, v95
	v_mul_f32_e32 v34, v32, v87
	v_fma_f32 v70, v63, v84, -v6
	v_mul_f32_e32 v6, v33, v95
	v_fmac_f32_e32 v72, v32, v86
	v_fmac_f32_e32 v62, v33, v94
	s_waitcnt lgkmcnt(1)
	v_mul_f32_e32 v56, v79, v93
	ds_read2_b32 v[32:33], v38 offset0:8 offset1:128
	v_fmac_f32_e32 v61, v35, v84
	v_fma_f32 v75, v67, v86, -v34
	v_fma_f32 v68, v68, v94, -v6
	v_mul_f32_e32 v6, v28, v93
	s_waitcnt vmcnt(11)
	v_mul_f32_e32 v54, v80, v97
	v_mul_f32_e32 v55, v29, v97
	ds_read2_b32 v[34:35], v45 offset0:104 offset1:224
	v_fmac_f32_e32 v56, v28, v92
	s_waitcnt lgkmcnt(2)
	v_mul_f32_e32 v60, v89, v99
	v_fmac_f32_e32 v54, v29, v96
	ds_read2_b32 v[28:29], v43 offset0:88 offset1:208
	v_fma_f32 v57, v80, v96, -v55
	v_mul_f32_e32 v55, v30, v99
	v_fmac_f32_e32 v60, v30, v98
	s_waitcnt vmcnt(10)
	v_mul_f32_e32 v30, v26, v101
	v_mul_f32_e32 v58, v90, v103
	;; [unrolled: 1-line block ×3, first 2 shown]
	v_fma_f32 v67, v89, v98, -v55
	v_fma_f32 v64, v79, v92, -v6
	;; [unrolled: 1-line block ×3, first 2 shown]
	v_fmac_f32_e32 v58, v31, v102
	ds_read2_b32 v[30:31], v47 offset0:120 offset1:240
	v_mul_f32_e32 v6, v74, v101
	s_waitcnt vmcnt(9) lgkmcnt(3)
	v_mul_f32_e32 v94, v32, v105
	v_mul_f32_e32 v74, v22, v105
	;; [unrolled: 1-line block ×3, first 2 shown]
	ds_read2_b32 v[92:93], v51 offset0:72 offset1:192
	v_fmac_f32_e32 v6, v26, v100
	s_waitcnt lgkmcnt(3)
	v_mul_f32_e32 v26, v35, v107
	v_fmac_f32_e32 v94, v22, v104
	v_fma_f32 v95, v32, v104, -v74
	s_waitcnt vmcnt(8)
	v_mul_f32_e32 v22, v23, v109
	s_waitcnt lgkmcnt(2)
	v_mul_f32_e32 v87, v28, v111
	v_mul_f32_e32 v32, v20, v111
	v_fmac_f32_e32 v26, v17, v106
	v_mul_f32_e32 v96, v33, v109
	v_fma_f32 v17, v35, v106, -v76
	v_fma_f32 v35, v33, v108, -v22
	v_fmac_f32_e32 v87, v20, v110
	v_fma_f32 v89, v28, v110, -v32
	s_waitcnt vmcnt(7)
	v_mul_f32_e32 v84, v29, v115
	v_mul_f32_e32 v20, v21, v115
	;; [unrolled: 1-line block ×3, first 2 shown]
	ds_read2_b32 v[32:33], v41 offset0:56 offset1:176
	v_fmac_f32_e32 v96, v23, v108
	v_fmac_f32_e32 v84, v21, v114
	v_fma_f32 v86, v29, v114, -v20
	s_waitcnt lgkmcnt(2)
	v_fma_f32 v21, v30, v112, -v28
	ds_read2_b32 v[28:29], v48 offset0:40 offset1:160
	v_mul_f32_e32 v22, v30, v113
	s_waitcnt vmcnt(6)
	v_mul_f32_e32 v23, v31, v117
	s_waitcnt lgkmcnt(2)
	v_mul_f32_e32 v79, v92, v119
	s_waitcnt vmcnt(5)
	v_mul_f32_e32 v20, v34, v121
	v_mul_f32_e32 v30, v16, v121
	v_fmac_f32_e32 v22, v24, v112
	v_fmac_f32_e32 v23, v25, v116
	v_mul_f32_e32 v24, v25, v117
	v_mul_f32_e32 v25, v18, v119
	;; [unrolled: 1-line block ×3, first 2 shown]
	v_fmac_f32_e32 v79, v18, v118
	v_fmac_f32_e32 v20, v16, v120
	v_fma_f32 v24, v31, v116, -v24
	v_fma_f32 v80, v92, v118, -v25
	;; [unrolled: 1-line block ×3, first 2 shown]
	v_mul_f32_e32 v18, v19, v123
	s_waitcnt vmcnt(4) lgkmcnt(1)
	v_mul_f32_e32 v25, v32, v125
	ds_read_b32 v30, v1 offset:13920
	ds_read_b32 v97, v49 offset:1920
	v_mul_f32_e32 v31, v12, v125
	s_waitcnt vmcnt(3)
	v_mul_f32_e32 v34, v33, v127
	v_fmac_f32_e32 v74, v19, v122
	v_mul_f32_e32 v19, v13, v127
	v_fma_f32 v76, v93, v122, -v18
	v_fmac_f32_e32 v25, v12, v124
	v_fma_f32 v12, v32, v124, -v31
	v_fmac_f32_e32 v34, v13, v126
	s_waitcnt vmcnt(2) lgkmcnt(2)
	v_mul_f32_e32 v18, v28, v129
	v_mul_f32_e32 v31, v14, v129
	v_fma_f32 v92, v33, v126, -v19
	v_fma_f32 v63, v90, v102, -v63
	s_waitcnt vmcnt(1)
	v_mul_f32_e32 v13, v29, v131
	v_fmac_f32_e32 v18, v14, v128
	v_fma_f32 v90, v28, v128, -v31
	v_add_f32_e32 v14, v35, v92
	v_add_f32_e32 v28, v96, v34
	;; [unrolled: 1-line block ×4, first 2 shown]
	v_mul_f32_e32 v32, v15, v131
	v_fmac_f32_e32 v70, -0.5, v14
	v_sub_f32_e32 v14, v96, v34
	v_fmac_f32_e32 v61, -0.5, v28
	v_sub_f32_e32 v28, v35, v92
	v_fmac_f32_e32 v13, v15, v130
	s_waitcnt vmcnt(0) lgkmcnt(1)
	v_mul_f32_e32 v15, v30, v37
	v_add_f32_e32 v19, v72, v87
	v_fmamk_f32 v99, v14, 0x3f5db3d7, v70
	v_fmac_f32_e32 v70, 0xbf5db3d7, v14
	v_fmamk_f32 v100, v28, 0xbf5db3d7, v61
	v_fmac_f32_e32 v61, 0x3f5db3d7, v28
	v_mul_f32_e32 v28, v83, v37
	v_add_f32_e32 v33, v95, v12
	v_fma_f32 v85, v29, v130, -v32
	v_add_f32_e32 v29, v11, v72
	v_fmac_f32_e32 v11, -0.5, v19
	v_sub_f32_e32 v14, v75, v89
	v_mul_f32_e32 v19, 0xbf5db3d7, v70
	v_fmac_f32_e32 v15, v83, v36
	v_fma_f32 v83, v30, v36, -v28
	v_add_f32_e32 v28, v94, v25
	v_add_f32_e32 v30, v78, v95
	v_fmac_f32_e32 v78, -0.5, v33
	v_sub_f32_e32 v33, v94, v25
	v_fmamk_f32 v32, v14, 0xbf5db3d7, v11
	v_fmac_f32_e32 v11, 0x3f5db3d7, v14
	v_add_f32_e32 v14, v88, v26
	v_fmac_f32_e32 v19, -0.5, v61
	v_add_f32_e32 v36, v71, v94
	v_fmac_f32_e32 v71, -0.5, v28
	v_sub_f32_e32 v28, v95, v12
	v_fmamk_f32 v37, v33, 0x3f5db3d7, v78
	v_fma_f32 v14, -0.5, v14, v10
	v_add_f32_e32 v35, v11, v19
	v_add_f32_e32 v10, v10, v88
	v_fmamk_f32 v101, v28, 0xbf5db3d7, v71
	v_mul_f32_e32 v102, 0xbf5db3d7, v37
	v_sub_f32_e32 v11, v11, v19
	v_add_f32_e32 v19, v36, v25
	v_sub_f32_e32 v25, v27, v17
	v_cndmask_b32_e64 v93, 0, 0x960, s0
	v_add_f32_e32 v10, v10, v26
	v_fmac_f32_e32 v102, 0.5, v101
	v_fmac_f32_e32 v78, 0xbf5db3d7, v33
	v_fmamk_f32 v33, v25, 0xbf5db3d7, v14
	v_add3_u32 v59, 0, v93, v59
	v_fmac_f32_e32 v71, 0x3f5db3d7, v28
	v_add_f32_e32 v36, v10, v19
	v_mul_f32_e32 v28, 0xbf5db3d7, v78
	v_add_f32_e32 v103, v33, v102
	v_fmac_f32_e32 v14, 0x3f5db3d7, v25
	v_mov_b32_e32 v25, 0x960
	ds_read2_b32 v[93:94], v1 offset1:120
	ds_read2_b32 v[95:96], v3 offset0:112 offset1:232
	s_waitcnt lgkmcnt(0)
	v_fmac_f32_e32 v28, -0.5, v71
	s_barrier
	buffer_gl0_inv
	ds_write2_b32 v59, v36, v103 offset1:100
	v_mul_u32_u24_sdwa v25, v65, v25 dst_sel:DWORD dst_unused:UNUSED_PAD src0_sel:WORD_0 src1_sel:DWORD
	v_lshlrev_b32_sdwa v36, v52, v91 dst_sel:DWORD dst_unused:UNUSED_PAD src0_sel:DWORD src1_sel:BYTE_0
	v_sub_f32_e32 v10, v10, v19
	v_add_f32_e32 v19, v14, v28
	v_add_nc_u32_e32 v103, 0x200, v59
	v_sub_f32_e32 v14, v14, v28
	v_mul_f32_e32 v28, 0xbf5db3d7, v99
	v_add_f32_e32 v31, v31, v34
	v_add_f32_e32 v29, v29, v87
	v_add3_u32 v65, 0, v25, v36
	v_add_f32_e32 v25, v24, v85
	v_sub_f32_e32 v33, v33, v102
	v_add_nc_u32_e32 v102, 0x400, v59
	v_fmac_f32_e32 v28, 0.5, v100
	ds_write2_b32 v103, v19, v10 offset0:72 offset1:172
	v_add_f32_e32 v10, v29, v31
	v_sub_f32_e32 v19, v29, v31
	v_add_f32_e32 v31, v23, v13
	v_add_f32_e32 v104, v57, v24
	v_fmac_f32_e32 v57, -0.5, v25
	v_sub_f32_e32 v25, v23, v13
	ds_write2_b32 v102, v33, v14 offset0:144 offset1:244
	v_add_f32_e32 v14, v32, v28
	v_add_f32_e32 v29, v60, v79
	;; [unrolled: 1-line block ×3, first 2 shown]
	v_fmac_f32_e32 v54, -0.5, v31
	v_sub_f32_e32 v24, v24, v85
	v_fmamk_f32 v105, v25, 0x3f5db3d7, v57
	v_fmac_f32_e32 v57, 0xbf5db3d7, v25
	v_add_nc_u32_e32 v91, 0x200, v65
	v_sub_f32_e32 v28, v32, v28
	v_add_nc_u32_e32 v107, 0x400, v65
	v_add_f32_e32 v32, v9, v60
	v_fmac_f32_e32 v9, -0.5, v29
	v_sub_f32_e32 v25, v67, v80
	v_fmamk_f32 v106, v24, 0xbf5db3d7, v54
	v_fmac_f32_e32 v54, 0x3f5db3d7, v24
	v_mul_f32_e32 v24, 0xbf5db3d7, v57
	ds_write2_b32 v65, v10, v14 offset1:100
	ds_write2_b32 v91, v35, v19 offset0:72 offset1:172
	ds_write2_b32 v107, v28, v11 offset0:144 offset1:244
	v_add_f32_e32 v14, v21, v90
	v_fmamk_f32 v29, v25, 0xbf5db3d7, v9
	v_fmac_f32_e32 v9, 0x3f5db3d7, v25
	v_fmac_f32_e32 v24, -0.5, v54
	v_add_f32_e32 v19, v22, v18
	v_add_f32_e32 v108, v64, v21
	v_fmac_f32_e32 v64, -0.5, v14
	v_sub_f32_e32 v14, v22, v18
	v_add_f32_e32 v25, v62, v84
	v_add_f32_e32 v11, v9, v24
	v_sub_f32_e32 v9, v9, v24
	v_add_f32_e32 v24, v56, v22
	v_fmac_f32_e32 v56, -0.5, v19
	v_sub_f32_e32 v19, v21, v90
	v_fmamk_f32 v109, v14, 0x3f5db3d7, v64
	v_fma_f32 v10, -0.5, v25, v8
	v_add_f32_e32 v18, v24, v18
	v_mul_u32_u24_e32 v21, 0x960, v73
	v_fmac_f32_e32 v64, 0xbf5db3d7, v14
	v_fmamk_f32 v73, v19, 0xbf5db3d7, v56
	v_mul_f32_e32 v14, 0xbf5db3d7, v109
	v_sub_f32_e32 v24, v68, v86
	v_lshlrev_b32_sdwa v22, v52, v82 dst_sel:DWORD dst_unused:UNUSED_PAD src0_sel:DWORD src1_sel:WORD_0
	v_add_f32_e32 v8, v8, v62
	v_fmac_f32_e32 v56, 0x3f5db3d7, v19
	v_fmac_f32_e32 v14, 0.5, v73
	v_fmamk_f32 v25, v24, 0xbf5db3d7, v10
	v_mul_f32_e32 v19, 0xbf5db3d7, v64
	v_fmac_f32_e32 v10, 0x3f5db3d7, v24
	v_mul_f32_e32 v24, 0xbf5db3d7, v105
	v_add3_u32 v82, 0, v21, v22
	v_add_f32_e32 v22, v25, v14
	v_sub_f32_e32 v14, v25, v14
	v_mul_u32_u24_e32 v25, 0x960, v77
	v_lshlrev_b32_sdwa v28, v52, v81 dst_sel:DWORD dst_unused:UNUSED_PAD src0_sel:DWORD src1_sel:WORD_0
	v_add_f32_e32 v8, v8, v84
	v_fmac_f32_e32 v19, -0.5, v56
	v_add_f32_e32 v13, v23, v13
	v_add_f32_e32 v23, v32, v79
	v_fmac_f32_e32 v24, 0.5, v106
	v_add3_u32 v77, 0, v25, v28
	v_add_f32_e32 v21, v8, v18
	v_sub_f32_e32 v8, v8, v18
	v_add_f32_e32 v18, v10, v19
	v_add_nc_u32_e32 v110, 0x200, v82
	v_sub_f32_e32 v10, v10, v19
	v_add_nc_u32_e32 v81, 0x400, v82
	v_add_f32_e32 v19, v23, v13
	v_add_f32_e32 v25, v29, v24
	v_sub_f32_e32 v13, v23, v13
	v_add_nc_u32_e32 v111, 0x200, v77
	ds_write2_b32 v82, v21, v22 offset1:100
	ds_write2_b32 v110, v18, v8 offset0:72 offset1:172
	ds_write2_b32 v81, v14, v10 offset0:144 offset1:244
	ds_write2_b32 v77, v19, v25 offset1:100
	ds_write2_b32 v111, v11, v13 offset0:72 offset1:172
	v_add_f32_e32 v11, v16, v83
	v_add_f32_e32 v14, v20, v15
	;; [unrolled: 1-line block ×5, first 2 shown]
	v_fmac_f32_e32 v55, -0.5, v11
	v_sub_f32_e32 v11, v20, v15
	v_fmac_f32_e32 v6, -0.5, v14
	v_sub_f32_e32 v14, v16, v83
	v_add_f32_e32 v13, v53, v58
	v_fmac_f32_e32 v53, -0.5, v10
	v_fmamk_f32 v114, v11, 0x3f5db3d7, v55
	v_add_f32_e32 v10, v18, v15
	v_lshlrev_b32_sdwa v15, v52, v69 dst_sel:DWORD dst_unused:UNUSED_PAD src0_sel:DWORD src1_sel:WORD_0
	v_fmac_f32_e32 v55, 0xbf5db3d7, v11
	v_fmamk_f32 v52, v14, 0xbf5db3d7, v6
	v_mul_f32_e32 v11, 0xbf5db3d7, v114
	v_sub_f32_e32 v18, v63, v76
	v_mul_u32_u24_e32 v16, 0x960, v66
	v_add_f32_e32 v13, v13, v74
	v_sub_f32_e32 v8, v29, v24
	v_fmac_f32_e32 v11, 0.5, v52
	v_fmamk_f32 v19, v18, 0xbf5db3d7, v53
	v_add_nc_u32_e32 v112, 0x400, v77
	v_add3_u32 v66, 0, v16, v15
	v_add_f32_e32 v15, v13, v10
	v_fmac_f32_e32 v6, 0x3f5db3d7, v14
	v_add_f32_e32 v16, v19, v11
	ds_write2_b32 v112, v8, v9 offset0:144 offset1:244
	ds_write2_b32 v66, v15, v16 offset1:100
	v_add_f32_e32 v9, v27, v17
	v_mul_f32_e32 v14, 0xbf5db3d7, v55
	v_add_f32_e32 v8, v93, v27
	v_mul_f32_e32 v115, 0.5, v37
	v_sub_f32_e32 v88, v88, v26
	v_fma_f32 v93, -0.5, v9, v93
	v_fmac_f32_e32 v53, 0x3f5db3d7, v18
	v_fmac_f32_e32 v14, -0.5, v6
	v_add_f32_e32 v116, v8, v17
	v_add_f32_e32 v117, v30, v12
	v_fmac_f32_e32 v115, 0x3f5db3d7, v101
	v_fmamk_f32 v101, v88, 0x3f5db3d7, v93
	v_sub_f32_e32 v10, v13, v10
	v_add_f32_e32 v13, v53, v14
	v_add_nc_u32_e32 v69, 0x200, v66
	v_add_f32_e32 v118, v116, v117
	v_add_f32_e32 v119, v101, v115
	v_sub_f32_e32 v11, v19, v11
	v_sub_f32_e32 v14, v53, v14
	v_add_nc_u32_e32 v53, 0x400, v66
	ds_write2_b32 v69, v13, v10 offset0:72 offset1:172
	ds_write2_b32 v53, v11, v14 offset0:144 offset1:244
	s_waitcnt lgkmcnt(0)
	s_barrier
	buffer_gl0_inv
	ds_read_b32 v36, v49 offset:1920
	ds_read_b32 v37, v1 offset:13920
	ds_read2_b32 v[8:9], v1 offset1:120
	ds_read2_b32 v[16:17], v40 offset0:88 offset1:208
	ds_read2_b32 v[10:11], v44 offset0:56 offset1:176
	;; [unrolled: 1-line block ×13, first 2 shown]
	s_waitcnt lgkmcnt(0)
	s_barrier
	buffer_gl0_inv
	ds_write2_b32 v59, v118, v119 offset1:100
	v_add_f32_e32 v59, v75, v89
	v_add_f32_e32 v75, v94, v75
	v_sub_f32_e32 v72, v72, v87
	v_mul_f32_e32 v78, -0.5, v78
	v_mul_f32_e32 v70, -0.5, v70
	v_fmac_f32_e32 v94, -0.5, v59
	v_add_f32_e32 v75, v75, v89
	v_fmac_f32_e32 v93, 0xbf5db3d7, v88
	v_fmac_f32_e32 v78, 0x3f5db3d7, v71
	v_mul_f32_e32 v59, 0.5, v99
	v_fmamk_f32 v89, v72, 0x3f5db3d7, v94
	v_fmac_f32_e32 v94, 0xbf5db3d7, v72
	v_add_f32_e32 v72, v68, v86
	v_fmac_f32_e32 v70, 0x3f5db3d7, v61
	v_add_f32_e32 v61, v95, v68
	v_sub_f32_e32 v62, v62, v84
	v_mul_f32_e32 v68, 0.5, v109
	v_fma_f32 v72, -0.5, v72, v95
	v_sub_f32_e32 v71, v116, v117
	v_add_f32_e32 v88, v93, v78
	v_add_f32_e32 v87, v98, v92
	v_fmac_f32_e32 v59, 0x3f5db3d7, v100
	v_sub_f32_e32 v101, v101, v115
	v_sub_f32_e32 v78, v93, v78
	v_add_f32_e32 v61, v61, v86
	v_add_f32_e32 v84, v108, v90
	v_fmac_f32_e32 v68, 0x3f5db3d7, v73
	v_fmamk_f32 v73, v62, 0x3f5db3d7, v72
	ds_write2_b32 v103, v88, v71 offset0:72 offset1:172
	ds_write2_b32 v102, v101, v78 offset0:144 offset1:244
	v_add_f32_e32 v71, v75, v87
	v_add_f32_e32 v78, v89, v59
	;; [unrolled: 1-line block ×3, first 2 shown]
	v_sub_f32_e32 v70, v94, v70
	v_sub_f32_e32 v59, v89, v59
	;; [unrolled: 1-line block ×3, first 2 shown]
	v_add_f32_e32 v87, v61, v84
	v_add_f32_e32 v88, v73, v68
	ds_write2_b32 v65, v71, v78 offset1:100
	ds_write2_b32 v91, v86, v75 offset0:72 offset1:172
	v_mul_f32_e32 v64, -0.5, v64
	ds_write2_b32 v107, v59, v70 offset0:144 offset1:244
	ds_write2_b32 v82, v87, v88 offset1:100
	v_add_f32_e32 v59, v67, v80
	v_mul_f32_e32 v57, -0.5, v57
	v_fmac_f32_e32 v72, 0xbf5db3d7, v62
	v_fmac_f32_e32 v64, 0x3f5db3d7, v56
	v_sub_f32_e32 v56, v61, v84
	v_add_f32_e32 v61, v96, v67
	v_fmac_f32_e32 v96, -0.5, v59
	v_sub_f32_e32 v59, v60, v79
	v_mul_f32_e32 v67, 0.5, v105
	v_sub_f32_e32 v60, v73, v68
	v_add_f32_e32 v61, v61, v80
	v_add_f32_e32 v68, v104, v85
	v_fmamk_f32 v65, v59, 0x3f5db3d7, v96
	v_fmac_f32_e32 v96, 0xbf5db3d7, v59
	v_add_f32_e32 v59, v63, v76
	v_fmac_f32_e32 v67, 0x3f5db3d7, v106
	v_fmac_f32_e32 v57, 0x3f5db3d7, v54
	v_add_f32_e32 v54, v97, v63
	v_sub_f32_e32 v58, v58, v74
	v_fmac_f32_e32 v97, -0.5, v59
	v_add_f32_e32 v63, v65, v67
	v_sub_f32_e32 v65, v65, v67
	v_mul_f32_e32 v67, 0.5, v114
	v_mul_f32_e32 v55, -0.5, v55
	v_add_f32_e32 v62, v72, v64
	v_add_f32_e32 v59, v61, v68
	v_sub_f32_e32 v61, v61, v68
	v_add_f32_e32 v54, v54, v76
	v_fmamk_f32 v68, v58, 0x3f5db3d7, v97
	v_fmac_f32_e32 v97, 0xbf5db3d7, v58
	v_add_f32_e32 v58, v113, v83
	v_fmac_f32_e32 v67, 0x3f5db3d7, v52
	v_fmac_f32_e32 v55, 0x3f5db3d7, v6
	v_sub_f32_e32 v64, v72, v64
	v_add_f32_e32 v6, v96, v57
	v_sub_f32_e32 v52, v96, v57
	v_add_f32_e32 v57, v54, v58
	v_add_f32_e32 v70, v68, v67
	v_sub_f32_e32 v54, v54, v58
	v_add_f32_e32 v58, v97, v55
	v_sub_f32_e32 v67, v68, v67
	v_sub_f32_e32 v55, v97, v55
	ds_write2_b32 v110, v62, v56 offset0:72 offset1:172
	ds_write2_b32 v81, v60, v64 offset0:144 offset1:244
	ds_write2_b32 v77, v59, v63 offset1:100
	ds_write2_b32 v111, v6, v61 offset0:72 offset1:172
	ds_write2_b32 v112, v65, v52 offset0:144 offset1:244
	ds_write2_b32 v66, v57, v70 offset1:100
	ds_write2_b32 v69, v58, v54 offset0:72 offset1:172
	ds_write2_b32 v53, v67, v55 offset0:144 offset1:244
	s_waitcnt lgkmcnt(0)
	s_barrier
	buffer_gl0_inv
	s_and_saveexec_b32 s0, vcc_lo
	s_cbranch_execz .LBB0_13
; %bb.12:
	v_mul_u32_u24_e32 v6, 5, v39
	v_mul_u32_u24_e32 v55, 5, v2
	v_lshlrev_b32_e32 v6, 3, v6
	v_lshlrev_b32_e32 v60, 3, v55
	v_add_co_u32 v6, s0, s8, v6
	v_add_co_ci_u32_e64 v54, null, s9, 0, s0
	v_add_co_u32 v62, s0, s8, v60
	v_add_co_u32 v52, vcc_lo, 0x1000, v6
	v_add_co_ci_u32_e32 v53, vcc_lo, 0, v54, vcc_lo
	v_add_co_u32 v56, vcc_lo, 0x1270, v6
	v_mad_u32_u24 v6, v39, 5, 0xfffffda8
	v_add_co_ci_u32_e64 v63, null, s9, 0, s0
	v_add_co_ci_u32_e32 v57, vcc_lo, 0, v54, vcc_lo
	v_lshlrev_b64 v[60:61], 3, v[6:7]
	v_add_co_u32 v64, vcc_lo, 0x1270, v62
	v_add_co_ci_u32_e32 v65, vcc_lo, 0, v63, vcc_lo
	v_add_co_u32 v62, vcc_lo, 0x1000, v62
	v_add_co_ci_u32_e32 v63, vcc_lo, 0, v63, vcc_lo
	;; [unrolled: 2-line block ×3, first 2 shown]
	s_clause 0x2
	global_load_dwordx4 v[52:55], v[52:53], off offset:624
	global_load_dwordx2 v[92:93], v[56:57], off offset:32
	global_load_dwordx4 v[56:59], v[56:57], off offset:16
	v_add_co_u32 v68, vcc_lo, 0x1000, v6
	v_add_co_ci_u32_e32 v69, vcc_lo, 0, v70, vcc_lo
	v_add_co_u32 v76, vcc_lo, 0x1270, v6
	v_add_co_ci_u32_e32 v77, vcc_lo, 0, v70, vcc_lo
	v_mad_u32_u24 v6, v39, 5, 0xfffffb50
	s_clause 0x5
	global_load_dwordx4 v[60:63], v[62:63], off offset:624
	global_load_dwordx2 v[94:95], v[64:65], off offset:32
	global_load_dwordx4 v[64:67], v[64:65], off offset:16
	global_load_dwordx4 v[68:71], v[68:69], off offset:624
	;; [unrolled: 1-line block ×3, first 2 shown]
	global_load_dwordx2 v[96:97], v[76:77], off offset:32
	v_lshlrev_b64 v[76:77], 3, v[6:7]
	v_add_co_u32 v6, vcc_lo, s8, v76
	v_add_co_ci_u32_e32 v78, vcc_lo, s9, v77, vcc_lo
	v_add_co_u32 v76, vcc_lo, 0x1000, v6
	v_add_co_ci_u32_e32 v77, vcc_lo, 0, v78, vcc_lo
	v_add_co_u32 v84, vcc_lo, 0x1270, v6
	v_mad_u32_u24 v6, v39, 5, 0xfffff8f8
	v_add_co_ci_u32_e32 v85, vcc_lo, 0, v78, vcc_lo
	s_clause 0x2
	global_load_dwordx4 v[76:79], v[76:77], off offset:624
	global_load_dwordx4 v[80:83], v[84:85], off offset:16
	global_load_dwordx2 v[98:99], v[84:85], off offset:32
	v_lshlrev_b64 v[84:85], 3, v[6:7]
	v_add_co_u32 v6, vcc_lo, s8, v84
	v_add_co_ci_u32_e32 v86, vcc_lo, s9, v85, vcc_lo
	v_add_co_u32 v84, vcc_lo, 0x1000, v6
	v_add_co_ci_u32_e32 v85, vcc_lo, 0, v86, vcc_lo
	v_add_co_u32 v100, vcc_lo, 0x1270, v6
	v_add_co_ci_u32_e32 v101, vcc_lo, 0, v86, vcc_lo
	s_clause 0x2
	global_load_dwordx4 v[84:87], v[84:85], off offset:624
	global_load_dwordx4 v[88:91], v[100:101], off offset:16
	global_load_dwordx2 v[100:101], v[100:101], off offset:32
	ds_read2_b32 v[102:103], v50 offset0:24 offset1:144
	ds_read2_b32 v[50:51], v51 offset0:72 offset1:192
	;; [unrolled: 1-line block ×4, first 2 shown]
	ds_read_b32 v6, v1 offset:13920
	ds_read_b32 v118, v49 offset:1920
	ds_read2_b32 v[106:107], v3 offset0:112 offset1:232
	ds_read2_b32 v[108:109], v46 offset0:72 offset1:192
	;; [unrolled: 1-line block ×9, first 2 shown]
	ds_read2_b32 v[116:117], v1 offset1:120
	s_waitcnt vmcnt(14)
	v_mul_f32_e32 v1, v33, v55
	s_waitcnt lgkmcnt(15)
	v_mul_f32_e32 v38, v103, v55
	s_waitcnt vmcnt(12)
	v_mul_f32_e32 v3, v35, v59
	s_waitcnt lgkmcnt(14)
	v_mul_f32_e32 v55, v51, v59
	s_waitcnt lgkmcnt(13)
	;; [unrolled: 2-line block ×3, first 2 shown]
	v_mul_f32_e32 v120, v93, v6
	v_mul_f32_e32 v53, v10, v53
	;; [unrolled: 1-line block ×5, first 2 shown]
	s_waitcnt vmcnt(11) lgkmcnt(5)
	v_mul_f32_e32 v123, v61, v110
	s_waitcnt vmcnt(10) lgkmcnt(3)
	v_mul_f32_e32 v125, v95, v40
	s_waitcnt vmcnt(9)
	v_mul_f32_e32 v124, v65, v112
	s_waitcnt vmcnt(8)
	v_mul_f32_e32 v126, v32, v71
	v_fma_f32 v3, v58, v51, -v3
	v_fmac_f32_e32 v55, v35, v58
	s_waitcnt vmcnt(7)
	v_mul_f32_e32 v35, v34, v75
	v_mul_f32_e32 v51, v50, v75
	v_fma_f32 v1, v54, v103, -v1
	v_fmac_f32_e32 v38, v33, v54
	v_fmac_f32_e32 v59, v10, v52
	v_fma_f32 v10, v52, v104, -v53
	v_mul_f32_e32 v33, v73, v47
	s_waitcnt vmcnt(6)
	v_mul_f32_e32 v52, v97, v49
	v_mul_f32_e32 v53, v27, v73
	;; [unrolled: 1-line block ×3, first 2 shown]
	v_fmac_f32_e32 v120, v37, v92
	v_mul_f32_e32 v37, v31, v69
	v_mul_f32_e32 v122, v13, v67
	;; [unrolled: 1-line block ×5, first 2 shown]
	v_fmac_f32_e32 v119, v12, v56
	v_fma_f32 v12, v56, v44, -v57
	v_mul_f32_e32 v44, v102, v71
	v_mul_f32_e32 v56, v69, v109
	v_fma_f32 v6, v92, v6, -v93
	v_fmac_f32_e32 v123, v16, v60
	v_fmac_f32_e32 v124, v18, v64
	;; [unrolled: 1-line block ×3, first 2 shown]
	v_fma_f32 v16, v70, v102, -v126
	v_fma_f32 v18, v74, v50, -v35
	v_fmac_f32_e32 v51, v34, v74
	v_fmac_f32_e32 v33, v27, v72
	;; [unrolled: 1-line block ×3, first 2 shown]
	v_fma_f32 v20, v72, v47, -v53
	v_fma_f32 v27, v96, v49, -v54
	;; [unrolled: 1-line block ×3, first 2 shown]
	s_waitcnt vmcnt(5) lgkmcnt(2)
	v_mul_f32_e32 v34, v115, v79
	s_waitcnt vmcnt(4) lgkmcnt(1)
	v_mul_f32_e32 v35, v43, v83
	v_mul_f32_e32 v37, v77, v108
	v_mul_f32_e32 v47, v26, v81
	s_waitcnt vmcnt(3)
	v_mul_f32_e32 v49, v28, v99
	v_mul_f32_e32 v67, v45, v67
	v_fma_f32 v69, v66, v45, -v122
	v_fma_f32 v64, v64, v112, -v65
	;; [unrolled: 1-line block ×4, first 2 shown]
	v_fmac_f32_e32 v44, v32, v70
	v_fmac_f32_e32 v56, v31, v68
	v_mul_f32_e32 v31, v23, v79
	v_mul_f32_e32 v32, v25, v83
	;; [unrolled: 1-line block ×5, first 2 shown]
	v_sub_f32_e32 v54, v38, v55
	v_sub_f32_e32 v61, v12, v6
	v_add_f32_e32 v68, v12, v6
	v_add_f32_e32 v71, v118, v1
	v_add_f32_e32 v12, v10, v12
	v_add_f32_e32 v72, v38, v55
	v_add_f32_e32 v38, v36, v38
	v_add_f32_e32 v73, v59, v119
	v_sub_f32_e32 v92, v20, v27
	v_add_f32_e32 v93, v20, v27
	v_fmac_f32_e32 v37, v30, v76
	v_add_f32_e32 v30, v107, v16
	v_add_f32_e32 v20, v29, v20
	v_fmac_f32_e32 v34, v23, v78
	v_fmac_f32_e32 v35, v25, v82
	v_fma_f32 v23, v80, v46, -v47
	v_fma_f32 v25, v98, v48, -v49
	v_add_f32_e32 v53, v1, v3
	v_sub_f32_e32 v70, v119, v120
	v_sub_f32_e32 v1, v1, v3
	v_add_f32_e32 v79, v16, v18
	v_sub_f32_e32 v81, v44, v51
	v_add_f32_e32 v83, v33, v52
	;; [unrolled: 2-line block ×4, first 2 shown]
	v_add_f32_e32 v33, v56, v33
	v_fma_f32 v31, v78, v115, -v31
	v_fma_f32 v32, v82, v43, -v32
	v_fmac_f32_e32 v40, v26, v80
	v_fmac_f32_e32 v45, v28, v98
	v_fma_f32 v26, v76, v108, -v50
	s_waitcnt vmcnt(1)
	v_mul_f32_e32 v43, v24, v91
	v_mul_f32_e32 v44, v114, v87
	;; [unrolled: 1-line block ×5, first 2 shown]
	s_waitcnt vmcnt(0)
	v_mul_f32_e32 v49, v101, v41
	v_mul_f32_e32 v50, v19, v89
	;; [unrolled: 1-line block ×4, first 2 shown]
	v_fma_f32 v10, -0.5, v68, v10
	v_add_f32_e32 v3, v71, v3
	v_add_f32_e32 v6, v12, v6
	v_fma_f32 v12, -0.5, v72, v36
	v_add_f32_e32 v36, v38, v55
	v_add_f32_e32 v38, v73, v120
	;; [unrolled: 3-line block ×3, first 2 shown]
	v_add_f32_e32 v73, v23, v25
	v_add_f32_e32 v57, v119, v120
	v_mul_f32_e32 v28, v22, v87
	v_fma_f32 v53, -0.5, v53, v118
	v_fma_f32 v55, -0.5, v79, v107
	;; [unrolled: 1-line block ×3, first 2 shown]
	v_add_f32_e32 v51, v16, v51
	v_add_f32_e32 v33, v33, v52
	;; [unrolled: 1-line block ×3, first 2 shown]
	v_sub_f32_e32 v68, v34, v35
	v_add_f32_e32 v71, v40, v45
	v_sub_f32_e32 v79, v40, v45
	v_add_f32_e32 v80, v106, v31
	v_add_f32_e32 v82, v34, v35
	;; [unrolled: 1-line block ×3, first 2 shown]
	v_fma_f32 v42, v90, v42, -v43
	v_fmac_f32_e32 v44, v22, v86
	v_fmac_f32_e32 v46, v24, v90
	;; [unrolled: 1-line block ×5, first 2 shown]
	v_fma_f32 v24, v88, v113, -v50
	v_fma_f32 v41, v100, v41, -v76
	;; [unrolled: 1-line block ×3, first 2 shown]
	v_fmamk_f32 v78, v70, 0xbf5db3d7, v10
	v_fmac_f32_e32 v10, 0x3f5db3d7, v70
	v_sub_f32_e32 v16, v3, v6
	v_add_f32_e32 v18, v3, v6
	v_fmamk_f32 v6, v94, 0xbf5db3d7, v29
	v_sub_f32_e32 v20, v30, v27
	v_add_f32_e32 v22, v30, v27
	v_fma_f32 v27, -0.5, v73, v26
	v_fma_f32 v57, -0.5, v57, v59
	;; [unrolled: 1-line block ×3, first 2 shown]
	v_sub_f32_e32 v72, v23, v25
	v_add_f32_e32 v23, v26, v23
	v_add_f32_e32 v40, v37, v40
	v_fmamk_f32 v50, v54, 0xbf5db3d7, v53
	v_fmac_f32_e32 v53, 0x3f5db3d7, v54
	v_fmamk_f32 v54, v1, 0x3f5db3d7, v12
	v_fmac_f32_e32 v12, 0xbf5db3d7, v1
	v_sub_f32_e32 v15, v36, v38
	v_add_f32_e32 v17, v36, v38
	v_fmamk_f32 v1, v81, 0xbf5db3d7, v55
	v_fmamk_f32 v3, v92, 0x3f5db3d7, v56
	v_fmac_f32_e32 v55, 0x3f5db3d7, v81
	v_fmac_f32_e32 v29, 0x3f5db3d7, v94
	v_sub_f32_e32 v19, v51, v33
	v_add_f32_e32 v21, v51, v33
	v_fma_f32 v51, -0.5, v52, v106
	v_fma_f32 v52, -0.5, v71, v37
	v_add_f32_e32 v26, v80, v32
	v_add_f32_e32 v30, v34, v35
	;; [unrolled: 1-line block ×4, first 2 shown]
	v_sub_f32_e32 v38, v48, v49
	v_add_f32_e32 v48, v47, v48
	v_mul_f32_e32 v73, 0.5, v10
	v_mul_f32_e32 v80, 0xbf5db3d7, v10
	v_mul_f32_e32 v81, -0.5, v6
	v_mul_f32_e32 v6, 0xbf5db3d7, v6
	v_fmamk_f32 v10, v79, 0xbf5db3d7, v27
	v_sub_f32_e32 v31, v31, v32
	v_fma_f32 v28, v86, v114, -v28
	v_fmac_f32_e32 v56, 0xbf5db3d7, v92
	v_fma_f32 v14, -0.5, v82, v14
	v_sub_f32_e32 v34, v44, v46
	v_add_f32_e32 v70, v44, v46
	v_add_f32_e32 v44, v9, v44
	v_mul_f32_e32 v83, 0xbf5db3d7, v29
	v_fmamk_f32 v85, v72, 0x3f5db3d7, v52
	v_fmac_f32_e32 v27, 0x3f5db3d7, v79
	v_fma_f32 v79, -0.5, v35, v47
	v_fma_f32 v47, -0.5, v37, v43
	v_add_f32_e32 v89, v48, v49
	v_fmac_f32_e32 v81, 0x3f5db3d7, v3
	v_fmac_f32_e32 v6, -0.5, v3
	v_mul_f32_e32 v3, -0.5, v10
	v_mul_f32_e32 v48, 0xbf5db3d7, v10
	v_mul_f32_e32 v121, v11, v63
	v_add_f32_e32 v77, v64, v65
	v_fmamk_f32 v76, v61, 0x3f5db3d7, v57
	v_fmac_f32_e32 v57, 0xbf5db3d7, v61
	v_fmamk_f32 v61, v96, 0x3f5db3d7, v59
	v_fmac_f32_e32 v59, 0xbf5db3d7, v96
	v_add_f32_e32 v32, v40, v45
	v_add_f32_e32 v33, v28, v42
	v_sub_f32_e32 v36, v24, v41
	s_waitcnt lgkmcnt(0)
	v_add_f32_e32 v40, v117, v28
	v_add_f32_e32 v45, v43, v24
	v_mul_f32_e32 v71, -0.5, v78
	v_mul_f32_e32 v78, 0xbf5db3d7, v78
	v_mul_f32_e32 v82, 0.5, v29
	v_fmamk_f32 v84, v68, 0xbf5db3d7, v51
	v_fmac_f32_e32 v51, 0x3f5db3d7, v68
	v_fmamk_f32 v68, v31, 0x3f5db3d7, v14
	v_add_f32_e32 v88, v44, v46
	v_fmac_f32_e32 v83, 0.5, v56
	v_fmamk_f32 v44, v38, 0xbf5db3d7, v47
	v_fmac_f32_e32 v47, 0x3f5db3d7, v38
	v_fmac_f32_e32 v3, 0x3f5db3d7, v85
	v_fmac_f32_e32 v48, -0.5, v85
	v_mul_f32_e32 v63, v105, v63
	v_fma_f32 v58, v62, v105, -v121
	v_add_f32_e32 v75, v124, v125
	v_add_f32_e32 v25, v23, v25
	v_sub_f32_e32 v28, v28, v42
	v_fmac_f32_e32 v52, 0xbf5db3d7, v72
	v_fma_f32 v72, -0.5, v33, v117
	v_add_f32_e32 v86, v40, v42
	v_add_f32_e32 v87, v45, v41
	v_fma_f32 v70, -0.5, v70, v9
	v_fmac_f32_e32 v71, 0x3f5db3d7, v76
	v_fmac_f32_e32 v78, -0.5, v76
	v_fmac_f32_e32 v82, 0x3f5db3d7, v56
	v_mul_f32_e32 v56, 0xbf5db3d7, v27
	v_fmamk_f32 v76, v36, 0x3f5db3d7, v79
	v_fmac_f32_e32 v79, 0xbf5db3d7, v36
	v_sub_f32_e32 v36, v1, v81
	v_sub_f32_e32 v35, v61, v6
	;; [unrolled: 1-line block ×3, first 2 shown]
	v_add_f32_e32 v41, v1, v81
	v_add_f32_e32 v40, v61, v6
	;; [unrolled: 1-line block ×3, first 2 shown]
	v_mul_f32_e32 v1, -0.5, v44
	v_mul_f32_e32 v6, 0.5, v47
	v_mul_f32_e32 v59, 0xbf5db3d7, v44
	v_sub_f32_e32 v45, v84, v3
	v_sub_f32_e32 v44, v68, v48
	v_add_f32_e32 v49, v84, v3
	v_add_f32_e32 v48, v68, v48
	v_fma_f32 v3, -0.5, v77, v60
	v_sub_f32_e32 v68, v124, v125
	v_add_f32_e32 v74, v58, v69
	v_sub_f32_e32 v24, v26, v25
	v_fmac_f32_e32 v14, 0xbf5db3d7, v31
	v_sub_f32_e32 v23, v30, v32
	v_add_f32_e32 v26, v26, v25
	v_add_f32_e32 v25, v30, v32
	v_fmac_f32_e32 v73, 0x3f5db3d7, v57
	v_fmac_f32_e32 v80, 0.5, v57
	v_fmamk_f32 v57, v34, 0xbf5db3d7, v72
	v_fmac_f32_e32 v72, 0x3f5db3d7, v34
	v_fmamk_f32 v90, v28, 0x3f5db3d7, v70
	v_fmac_f32_e32 v70, 0xbf5db3d7, v28
	v_sub_f32_e32 v28, v50, v71
	v_add_f32_e32 v32, v50, v71
	v_fmac_f32_e32 v56, 0.5, v52
	v_mul_f32_e32 v61, 0xbf5db3d7, v47
	v_fmac_f32_e32 v6, 0x3f5db3d7, v79
	v_fmac_f32_e32 v63, v11, v62
	;; [unrolled: 1-line block ×3, first 2 shown]
	v_fma_f32 v62, -0.5, v75, v123
	v_sub_f32_e32 v66, v64, v65
	v_fmamk_f32 v71, v68, 0xbf5db3d7, v3
	v_fmac_f32_e32 v3, 0x3f5db3d7, v68
	v_sub_f32_e32 v30, v53, v73
	v_add_f32_e32 v34, v53, v73
	v_sub_f32_e32 v38, v55, v82
	v_add_f32_e32 v43, v55, v82
	v_sub_f32_e32 v46, v14, v56
	v_fmac_f32_e32 v1, 0x3f5db3d7, v76
	v_fmac_f32_e32 v59, -0.5, v76
	v_fmac_f32_e32 v61, 0.5, v79
	v_add_f32_e32 v50, v14, v56
	v_sub_f32_e32 v55, v72, v6
	v_fma_f32 v73, -0.5, v74, v116
	v_sub_f32_e32 v74, v63, v67
	v_fmamk_f32 v75, v66, 0x3f5db3d7, v62
	v_mul_f32_e32 v76, -0.5, v71
	v_add_f32_e32 v14, v72, v6
	v_fmac_f32_e32 v62, 0xbf5db3d7, v66
	v_mul_f32_e32 v66, 0.5, v3
	v_mul_f32_e32 v72, 0xbf5db3d7, v3
	v_add_f32_e32 v3, v8, v63
	v_mul_f32_e32 v9, 0.5, v27
	v_sub_f32_e32 v27, v54, v78
	v_sub_f32_e32 v29, v12, v80
	v_add_f32_e32 v31, v54, v78
	v_add_f32_e32 v33, v12, v80
	v_sub_f32_e32 v53, v57, v1
	v_sub_f32_e32 v54, v70, v61
	v_add_f32_e32 v12, v57, v1
	v_fmamk_f32 v1, v74, 0xbf5db3d7, v73
	v_fmac_f32_e32 v76, 0x3f5db3d7, v75
	v_add_f32_e32 v13, v70, v61
	v_fmac_f32_e32 v73, 0x3f5db3d7, v74
	v_add_f32_e32 v6, v63, v67
	v_add_f32_e32 v61, v116, v58
	;; [unrolled: 1-line block ×4, first 2 shown]
	v_mov_b32_e32 v3, v7
	v_mul_f32_e32 v70, 0xbf5db3d7, v71
	v_fmac_f32_e32 v9, 0x3f5db3d7, v52
	v_sub_f32_e32 v52, v90, v59
	v_add_f32_e32 v11, v90, v59
	v_sub_f32_e32 v59, v1, v76
	v_fma_f32 v68, -0.5, v6, v8
	v_sub_f32_e32 v6, v58, v69
	v_add_f32_e32 v64, v61, v69
	v_add_f32_e32 v69, v60, v65
	v_add_f32_e32 v65, v1, v76
	v_lshlrev_b64 v[1:2], 3, v[2:3]
	v_fmac_f32_e32 v70, -0.5, v75
	v_add_co_u32 v75, vcc_lo, s2, v4
	v_add_co_ci_u32_e32 v76, vcc_lo, s3, v5, vcc_lo
	v_fmamk_f32 v71, v6, 0x3f5db3d7, v68
	v_fmac_f32_e32 v68, 0xbf5db3d7, v6
	v_fmac_f32_e32 v72, 0.5, v62
	v_add_co_u32 v3, vcc_lo, v75, v1
	v_add_f32_e32 v8, v123, v124
	v_add_co_ci_u32_e32 v4, vcc_lo, v76, v2, vcc_lo
	v_sub_f32_e32 v60, v68, v72
	v_add_f32_e32 v5, v68, v72
	v_add_co_u32 v68, vcc_lo, 0x1000, v3
	v_fmac_f32_e32 v66, 0x3f5db3d7, v62
	v_add_f32_e32 v8, v8, v125
	v_sub_f32_e32 v63, v64, v69
	v_add_f32_e32 v67, v64, v69
	v_add_co_ci_u32_e32 v69, vcc_lo, 0, v4, vcc_lo
	v_add_co_u32 v1, vcc_lo, 0x2000, v3
	v_add_co_ci_u32_e32 v2, vcc_lo, 0, v4, vcc_lo
	v_sub_f32_e32 v58, v71, v70
	v_add_f32_e32 v64, v71, v70
	v_add_co_u32 v70, vcc_lo, 0x3800, v3
	v_sub_f32_e32 v61, v73, v66
	v_add_f32_e32 v6, v73, v66
	v_add_f32_e32 v66, v74, v8
	v_add_co_ci_u32_e32 v71, vcc_lo, 0, v4, vcc_lo
	v_add_co_u32 v72, vcc_lo, 0x4800, v3
	v_sub_f32_e32 v62, v74, v8
	v_add_co_ci_u32_e32 v73, vcc_lo, 0, v4, vcc_lo
	global_store_dwordx2 v[3:4], v[66:67], off
	global_store_dwordx2 v[68:69], v[5:6], off offset:704
	global_store_dwordx2 v[1:2], v[64:65], off offset:1408
	global_store_dwordx2 v[70:71], v[62:63], off offset:64
	global_store_dwordx2 v[72:73], v[60:61], off offset:768
	v_mov_b32_e32 v1, v7
	v_add_co_u32 v5, vcc_lo, 0x5800, v3
	v_add_co_ci_u32_e32 v6, vcc_lo, 0, v4, vcc_lo
	v_lshlrev_b64 v[0:1], 3, v[0:1]
	v_add_co_u32 v60, vcc_lo, 0x2800, v3
	v_add_f32_e32 v57, v86, v87
	v_add_f32_e32 v56, v88, v89
	v_add_co_ci_u32_e32 v61, vcc_lo, 0, v4, vcc_lo
	v_add_co_u32 v0, vcc_lo, v75, v0
	v_add_co_ci_u32_e32 v1, vcc_lo, v76, v1, vcc_lo
	v_mul_hi_u32 v2, 0x1b4e81b5, v39
	global_store_dwordx2 v[5:6], v[58:59], off offset:1472
	global_store_dwordx2 v[3:4], v[56:57], off offset:960
	global_store_dwordx2 v[68:69], v[13:14], off offset:1664
	global_store_dwordx2 v[60:61], v[11:12], off offset:320
	v_add_co_u32 v5, vcc_lo, 0x6000, v3
	v_sub_f32_e32 v10, v86, v87
	v_sub_f32_e32 v47, v51, v9
	v_add_f32_e32 v51, v51, v9
	v_sub_f32_e32 v9, v88, v89
	v_add_co_ci_u32_e32 v6, vcc_lo, 0, v4, vcc_lo
	v_add_co_u32 v11, vcc_lo, 0x1800, v3
	v_add_co_ci_u32_e32 v12, vcc_lo, 0, v4, vcc_lo
	global_store_dwordx2 v[0:1], v[9:10], off
	global_store_dwordx2 v[72:73], v[54:55], off offset:1728
	global_store_dwordx2 v[5:6], v[52:53], off offset:384
	;; [unrolled: 1-line block ×4, first 2 shown]
	v_add_co_u32 v0, vcc_lo, 0x5000, v3
	v_lshrrev_b32_e32 v2, 6, v2
	v_add_co_ci_u32_e32 v1, vcc_lo, 0, v4, vcc_lo
	v_add_co_u32 v8, vcc_lo, 0x800, v3
	v_add_co_ci_u32_e32 v9, vcc_lo, 0, v4, vcc_lo
	global_store_dwordx2 v[60:61], v[48:49], off offset:1280
	global_store_dwordx2 v[70:71], v[23:24], off offset:1984
	;; [unrolled: 1-line block ×6, first 2 shown]
	v_mad_u32_u24 v6, 0xbb8, v2, v39
	v_add_co_u32 v8, vcc_lo, 0x3000, v3
	v_add_co_ci_u32_e32 v9, vcc_lo, 0, v4, vcc_lo
	v_add_co_u32 v10, vcc_lo, 0x4000, v3
	v_lshlrev_b64 v[5:6], 3, v[6:7]
	v_add_co_ci_u32_e32 v11, vcc_lo, 0, v4, vcc_lo
	v_add_co_u32 v2, vcc_lo, 0x6800, v3
	v_add_co_ci_u32_e32 v3, vcc_lo, 0, v4, vcc_lo
	v_add_co_u32 v4, vcc_lo, v75, v5
	v_add_co_ci_u32_e32 v5, vcc_lo, v76, v6, vcc_lo
	global_store_dwordx2 v[8:9], v[40:41], off offset:192
	global_store_dwordx2 v[10:11], v[19:20], off offset:896
	;; [unrolled: 1-line block ×4, first 2 shown]
	global_store_dwordx2 v[4:5], v[17:18], off
	v_add_co_u32 v0, vcc_lo, 0x1000, v4
	v_add_co_ci_u32_e32 v1, vcc_lo, 0, v5, vcc_lo
	v_add_co_u32 v2, vcc_lo, 0x2000, v4
	v_add_co_ci_u32_e32 v3, vcc_lo, 0, v5, vcc_lo
	;; [unrolled: 2-line block ×5, first 2 shown]
	global_store_dwordx2 v[0:1], v[33:34], off offset:704
	global_store_dwordx2 v[2:3], v[31:32], off offset:1408
	;; [unrolled: 1-line block ×5, first 2 shown]
.LBB0_13:
	s_endpgm
	.section	.rodata,"a",@progbits
	.p2align	6, 0x0
	.amdhsa_kernel fft_rtc_back_len3600_factors_10_10_6_6_wgs_120_tpt_120_halfLds_sp_ip_CI_unitstride_sbrr_dirReg
		.amdhsa_group_segment_fixed_size 0
		.amdhsa_private_segment_fixed_size 0
		.amdhsa_kernarg_size 88
		.amdhsa_user_sgpr_count 6
		.amdhsa_user_sgpr_private_segment_buffer 1
		.amdhsa_user_sgpr_dispatch_ptr 0
		.amdhsa_user_sgpr_queue_ptr 0
		.amdhsa_user_sgpr_kernarg_segment_ptr 1
		.amdhsa_user_sgpr_dispatch_id 0
		.amdhsa_user_sgpr_flat_scratch_init 0
		.amdhsa_user_sgpr_private_segment_size 0
		.amdhsa_wavefront_size32 1
		.amdhsa_uses_dynamic_stack 0
		.amdhsa_system_sgpr_private_segment_wavefront_offset 0
		.amdhsa_system_sgpr_workgroup_id_x 1
		.amdhsa_system_sgpr_workgroup_id_y 0
		.amdhsa_system_sgpr_workgroup_id_z 0
		.amdhsa_system_sgpr_workgroup_info 0
		.amdhsa_system_vgpr_workitem_id 0
		.amdhsa_next_free_vgpr 138
		.amdhsa_next_free_sgpr 21
		.amdhsa_reserve_vcc 1
		.amdhsa_reserve_flat_scratch 0
		.amdhsa_float_round_mode_32 0
		.amdhsa_float_round_mode_16_64 0
		.amdhsa_float_denorm_mode_32 3
		.amdhsa_float_denorm_mode_16_64 3
		.amdhsa_dx10_clamp 1
		.amdhsa_ieee_mode 1
		.amdhsa_fp16_overflow 0
		.amdhsa_workgroup_processor_mode 1
		.amdhsa_memory_ordered 1
		.amdhsa_forward_progress 0
		.amdhsa_shared_vgpr_count 0
		.amdhsa_exception_fp_ieee_invalid_op 0
		.amdhsa_exception_fp_denorm_src 0
		.amdhsa_exception_fp_ieee_div_zero 0
		.amdhsa_exception_fp_ieee_overflow 0
		.amdhsa_exception_fp_ieee_underflow 0
		.amdhsa_exception_fp_ieee_inexact 0
		.amdhsa_exception_int_div_zero 0
	.end_amdhsa_kernel
	.text
.Lfunc_end0:
	.size	fft_rtc_back_len3600_factors_10_10_6_6_wgs_120_tpt_120_halfLds_sp_ip_CI_unitstride_sbrr_dirReg, .Lfunc_end0-fft_rtc_back_len3600_factors_10_10_6_6_wgs_120_tpt_120_halfLds_sp_ip_CI_unitstride_sbrr_dirReg
                                        ; -- End function
	.section	.AMDGPU.csdata,"",@progbits
; Kernel info:
; codeLenInByte = 15192
; NumSgprs: 23
; NumVgprs: 138
; ScratchSize: 0
; MemoryBound: 0
; FloatMode: 240
; IeeeMode: 1
; LDSByteSize: 0 bytes/workgroup (compile time only)
; SGPRBlocks: 2
; VGPRBlocks: 17
; NumSGPRsForWavesPerEU: 23
; NumVGPRsForWavesPerEU: 138
; Occupancy: 7
; WaveLimiterHint : 1
; COMPUTE_PGM_RSRC2:SCRATCH_EN: 0
; COMPUTE_PGM_RSRC2:USER_SGPR: 6
; COMPUTE_PGM_RSRC2:TRAP_HANDLER: 0
; COMPUTE_PGM_RSRC2:TGID_X_EN: 1
; COMPUTE_PGM_RSRC2:TGID_Y_EN: 0
; COMPUTE_PGM_RSRC2:TGID_Z_EN: 0
; COMPUTE_PGM_RSRC2:TIDIG_COMP_CNT: 0
	.text
	.p2alignl 6, 3214868480
	.fill 48, 4, 3214868480
	.type	__hip_cuid_aecbf68a7e262a9,@object ; @__hip_cuid_aecbf68a7e262a9
	.section	.bss,"aw",@nobits
	.globl	__hip_cuid_aecbf68a7e262a9
__hip_cuid_aecbf68a7e262a9:
	.byte	0                               ; 0x0
	.size	__hip_cuid_aecbf68a7e262a9, 1

	.ident	"AMD clang version 19.0.0git (https://github.com/RadeonOpenCompute/llvm-project roc-6.4.0 25133 c7fe45cf4b819c5991fe208aaa96edf142730f1d)"
	.section	".note.GNU-stack","",@progbits
	.addrsig
	.addrsig_sym __hip_cuid_aecbf68a7e262a9
	.amdgpu_metadata
---
amdhsa.kernels:
  - .args:
      - .actual_access:  read_only
        .address_space:  global
        .offset:         0
        .size:           8
        .value_kind:     global_buffer
      - .offset:         8
        .size:           8
        .value_kind:     by_value
      - .actual_access:  read_only
        .address_space:  global
        .offset:         16
        .size:           8
        .value_kind:     global_buffer
      - .actual_access:  read_only
        .address_space:  global
        .offset:         24
        .size:           8
        .value_kind:     global_buffer
      - .offset:         32
        .size:           8
        .value_kind:     by_value
      - .actual_access:  read_only
        .address_space:  global
        .offset:         40
        .size:           8
        .value_kind:     global_buffer
      - .actual_access:  read_only
        .address_space:  global
        .offset:         48
        .size:           8
        .value_kind:     global_buffer
      - .offset:         56
        .size:           4
        .value_kind:     by_value
      - .actual_access:  read_only
        .address_space:  global
        .offset:         64
        .size:           8
        .value_kind:     global_buffer
      - .actual_access:  read_only
        .address_space:  global
        .offset:         72
        .size:           8
        .value_kind:     global_buffer
      - .address_space:  global
        .offset:         80
        .size:           8
        .value_kind:     global_buffer
    .group_segment_fixed_size: 0
    .kernarg_segment_align: 8
    .kernarg_segment_size: 88
    .language:       OpenCL C
    .language_version:
      - 2
      - 0
    .max_flat_workgroup_size: 120
    .name:           fft_rtc_back_len3600_factors_10_10_6_6_wgs_120_tpt_120_halfLds_sp_ip_CI_unitstride_sbrr_dirReg
    .private_segment_fixed_size: 0
    .sgpr_count:     23
    .sgpr_spill_count: 0
    .symbol:         fft_rtc_back_len3600_factors_10_10_6_6_wgs_120_tpt_120_halfLds_sp_ip_CI_unitstride_sbrr_dirReg.kd
    .uniform_work_group_size: 1
    .uses_dynamic_stack: false
    .vgpr_count:     138
    .vgpr_spill_count: 0
    .wavefront_size: 32
    .workgroup_processor_mode: 1
amdhsa.target:   amdgcn-amd-amdhsa--gfx1030
amdhsa.version:
  - 1
  - 2
...

	.end_amdgpu_metadata
